;; amdgpu-corpus repo=ROCm/aiter kind=harvested arch=n/a opt=n/a

/root/src/amdgpu-assembly/repos/ROCm__aiter/hsa/gfx950/bf16gemm/bf16gemm_fp32bf16_tn_80x64_bshuffle_splitk_clean.co:	file format elf64-amdgpu

Disassembly of section .text:

0000000000002a00 <_ZN5aiter48bf16gemm_fp32bf16_tn_80x64_bshuffle_splitk_cleanE>:
	s_mov_b32 s53, s4                                          // 000000002A00: BEB50004
	s_and_b32 s1, s1, 0xffff                                   // 000000002A04: 8601FF01 0000FFFF
	s_load_dword s25, s[0:1], 0xe0                             // 000000002A0C: C0020640 000000E0
	s_load_dword s26, s[0:1], 0xf0                             // 000000002A14: C0020680 000000F0
	s_load_dword s27, s[0:1], 0x100                            // 000000002A1C: C00206C0 00000100
	s_load_dword s28, s[0:1], 0xa0                             // 000000002A24: C0020700 000000A0
	s_load_dword s29, s[0:1], 0xc0                             // 000000002A2C: C0020740 000000C0
	s_load_dword s30, s[0:1], 0x80                             // 000000002A34: C0020780 00000080
	s_load_dword s20, s[0:1], 0x40                             // 000000002A3C: C0020500 00000040
	s_load_dword s21, s[0:1], 0x50                             // 000000002A44: C0020540 00000050
	s_load_dwordx2 s[4:5], s[0:1], 0x20                        // 000000002A4C: C0060100 00000020
	s_load_dwordx2 s[8:9], s[0:1], 0x30                        // 000000002A54: C0060200 00000030
	s_load_dwordx2 s[12:13], s[0:1], 0x10                      // 000000002A5C: C0060300 00000010
	s_load_dwordx2 s[16:17], s[0:1], 0x0                       // 000000002A64: C0060400 00000000
	s_load_dword s52, s[0:1], 0x110                            // 000000002A6C: C0020D00 00000110
	s_load_dword s54, s[0:1], 0x120                            // 000000002A74: C0020D80 00000120
	s_load_dwordx2 s[36:37], s[0:1], 0x130                     // 000000002A7C: C0060900 00000130
	s_load_dword s61, s[0:1], 0x140                            // 000000002A84: C0020F40 00000140
	s_load_dwordx2 s[40:41], s[0:1], 0x150                     // 000000002A8C: C0060A00 00000150
	v_lshrrev_b32_e32 v1, 10, v0                               // 000000002A94: 2002008A
	v_lshrrev_b32_e32 v2, 10, v1                               // 000000002A98: 2004028A
	v_and_b32_e32 v2, 0x3ff, v2                                // 000000002A9C: 260404FF 000003FF
	v_and_b32_e32 v1, 0x3ff, v1                                // 000000002AA4: 260202FF 000003FF
	v_and_b32_e32 v0, 0x3ff, v0                                // 000000002AAC: 260000FF 000003FF
	v_lshrrev_b32_e32 v3, 6, v0                                // 000000002AB4: 20060086
	v_and_b32_e32 v0, 63, v0                                   // 000000002AB8: 260000BF
	s_mov_b32 s22, s2                                          // 000000002ABC: BE960002
	s_mov_b32 s23, s3                                          // 000000002AC0: BE970003
	v_readfirstlane_b32 s24, v3                                // 000000002AC4: 7E300503
	s_waitcnt lgkmcnt(0)                                       // 000000002AC8: BF8CC07F
	s_mov_b32 s18, -16                                         // 000000002ACC: BE9200D0
	s_mov_b32 s14, -16                                         // 000000002AD0: BE8E00D0
	s_mov_b32 s10, -16                                         // 000000002AD4: BE8A00D0
	s_mov_b32 s6, -16                                          // 000000002AD8: BE8600D0
	s_mov_b32 s38, -16                                         // 000000002ADC: BEA600D0
	s_mov_b32 s19, 0x20000                                     // 000000002AE0: BE9300FF 00020000
	s_mov_b32 s15, 0x20000                                     // 000000002AE8: BE8F00FF 00020000
	s_mov_b32 s11, 0x20000                                     // 000000002AF0: BE8B00FF 00020000
	s_mov_b32 s7, 0x20000                                      // 000000002AF8: BE8700FF 00020000
	s_mov_b32 s39, 0x20000                                     // 000000002B00: BEA700FF 00020000
	s_and_b32 s17, s17, 0xffff                                 // 000000002B08: 8611FF11 0000FFFF
	s_and_b32 s13, s13, 0xffff                                 // 000000002B10: 860DFF0D 0000FFFF
	s_and_b32 s9, s9, 0xffff                                   // 000000002B18: 8609FF09 0000FFFF
	s_and_b32 s5, s5, 0xffff                                   // 000000002B20: 8605FF05 0000FFFF
	s_and_b32 s37, s37, 0xffff                                 // 000000002B28: 8625FF25 0000FFFF
	s_or_b32 s17, s17, 0x40000                                 // 000000002B30: 8711FF11 00040000
	s_or_b32 s13, s13, 0x40000                                 // 000000002B38: 870DFF0D 00040000
	s_or_b32 s9, s9, 0x40000                                   // 000000002B40: 8709FF09 00040000
	s_or_b32 s5, s5, 0x40000                                   // 000000002B48: 8705FF05 00040000
	s_or_b32 s37, s37, 0x40000                                 // 000000002B50: 8725FF25 00040000
	s_add_u32 s31, s26, 63                                     // 000000002B58: 801FBF1A
	s_lshr_b32 s31, s31, 6                                     // 000000002B5C: 8F1F861F
	s_mul_i32 s62, s23, s31                                    // 000000002B60: 923E1F17
	s_add_u32 s62, s62, s22                                    // 000000002B64: 803E163E
	s_lshl_b32 s62, s62, 2                                     // 000000002B68: 8E3E823E
	s_cmp_eq_u32 s53, 0                                        // 000000002B6C: BF068035
	s_cbranch_scc0 label_005F                                  // 000000002B70: BF840002
	s_load_dword s63, s[40:41], s62 glc                        // 000000002B74: C0010FD4 0000003E

0000000000002b7c <label_005F>:
	s_mov_b32 s35, 0x7060302                                   // 000000002B7C: BEA300FF 07060302
	v_mov_b32_e32 v9, 0xffff0000                               // 000000002B84: 7E1202FF FFFF0000
	v_mov_b32_e32 v10, 0x7fff0000                              // 000000002B8C: 7E1402FF 7FFF0000
	v_mov_b32_e32 v11, 0x7fff                                  // 000000002B94: 7E1602FF 00007FFF
	s_mul_i32 s31, s30, s25                                    // 000000002B9C: 921F191E
	s_mov_b32 s18, s31                                         // 000000002BA0: BE92001F
	s_cmp_lt_u32 s54, 1                                        // 000000002BA4: BF0A8136
	s_cbranch_scc0 label_008A                                  // 000000002BA8: BF84001F
	v_and_b32_e64 v12, v0, 15                                  // 000000002BAC: D113000C 00011F00
	v_mul_lo_u32 v12, v12, s30                                 // 000000002BB4: D285000C 00003D0C
	v_lshrrev_b32_e32 v4, 4, v0                                // 000000002BBC: 20080084
	v_mul_i32_i24_e32 v4, 16, v4                               // 000000002BC0: 0C080890
	v_add_u32_e32 v12, v4, v12                                 // 000000002BC4: 68181904
	s_mul_i32 s31, s23, 0x50                                   // 000000002BC8: 921FFF17 00000050
	s_mul_i32 s31, s31, s30                                    // 000000002BD0: 921F1E1F
	v_add_u32_e32 v12, s31, v12                                // 000000002BD4: 6818181F
	s_mul_i32 s31, s22, 64                                     // 000000002BD8: 921FC016
	s_mul_i32 s31, s31, 4                                      // 000000002BDC: 921F841F
	v_add_u32_e32 v12, s31, v12                                // 000000002BE0: 6818181F
	s_mul_i32 s31, 64, s24                                     // 000000002BE4: 921F18C0
	v_add_u32_e32 v12, s31, v12                                // 000000002BE8: 6818181F
	s_mul_i32 s31, 16, s30                                     // 000000002BEC: 921F1E90
	v_add_u32_e32 v13, s31, v12                                // 000000002BF0: 681A181F
	v_add_u32_e32 v14, s31, v13                                // 000000002BF4: 681C1A1F
	v_add_u32_e32 v15, s31, v14                                // 000000002BF8: 681E1C1F
	v_add_u32_e32 v16, s31, v15                                // 000000002BFC: 68201E1F
	s_mul_i32 s31, s23, 0x50                                   // 000000002C00: 921FFF17 00000050
	s_add_i32 s31, s31, s24                                    // 000000002C08: 811F181F
	s_mul_i32 s31, s31, s30                                    // 000000002C0C: 921F1E1F
	s_mul_i32 s32, s22, 64                                     // 000000002C10: 9220C016
	s_mul_i32 s32, s32, 4                                      // 000000002C14: 92208420
	s_add_i32 s31, s31, s32                                    // 000000002C18: 811F201F
	v_lshlrev_b32_e32 v17, 2, v0                               // 000000002C1C: 24220082
	v_add_u32_e32 v17, s31, v17                                // 000000002C20: 6822221F
	s_branch label_00AE                                        // 000000002C24: BF820024

0000000000002c28 <label_008A>:
	v_and_b32_e64 v12, v0, 15                                  // 000000002C28: D113000C 00011F00
	v_mul_lo_u32 v12, v12, s30                                 // 000000002C30: D285000C 00003D0C
	v_lshrrev_b32_e32 v4, 4, v0                                // 000000002C38: 20080084
	v_mul_i32_i24_e32 v4, 8, v4                                // 000000002C3C: 0C080888
	v_add_u32_e32 v12, v4, v12                                 // 000000002C40: 68181904
	s_mul_i32 s31, s23, 0x50                                   // 000000002C44: 921FFF17 00000050
	s_mul_i32 s31, s31, s30                                    // 000000002C4C: 921F1E1F
	v_add_u32_e32 v12, s31, v12                                // 000000002C50: 6818181F
	s_mul_i32 s31, s22, 64                                     // 000000002C54: 921FC016
	s_mul_i32 s31, s31, 2                                      // 000000002C58: 921F821F
	v_add_u32_e32 v12, s31, v12                                // 000000002C5C: 6818181F
	s_mul_i32 s31, 32, s24                                     // 000000002C60: 921F18A0
	v_add_u32_e32 v12, s31, v12                                // 000000002C64: 6818181F
	s_mul_i32 s31, 16, s30                                     // 000000002C68: 921F1E90
	v_add_u32_e32 v13, s31, v12                                // 000000002C6C: 681A181F
	v_add_u32_e32 v14, s31, v13                                // 000000002C70: 681C1A1F
	v_add_u32_e32 v15, s31, v14                                // 000000002C74: 681E1C1F
	v_add_u32_e32 v16, s31, v15                                // 000000002C78: 68201E1F
	s_mul_i32 s31, s23, 0x50                                   // 000000002C7C: 921FFF17 00000050
	s_add_i32 s31, s31, s24                                    // 000000002C84: 811F181F
	s_mul_i32 s31, s31, s30                                    // 000000002C88: 921F1E1F
	s_mul_i32 s32, s22, 64                                     // 000000002C8C: 9220C016
	s_mul_i32 s32, s32, 2                                      // 000000002C90: 92208220
	s_add_i32 s31, s31, s32                                    // 000000002C94: 811F201F
	v_lshrrev_b32_e32 v4, 5, v0                                // 000000002C98: 20080085
	s_mul_i32 s32, s30, 4                                      // 000000002C9C: 9220841E
	v_mul_lo_u32 v4, v4, s32                                   // 000000002CA0: D2850004 00004104
	v_and_b32_e32 v5, 31, v0                                   // 000000002CA8: 260A009F
	v_lshlrev_b32_e32 v5, 2, v5                                // 000000002CAC: 240A0A82
	v_add_u32_e32 v17, v4, v5                                  // 000000002CB0: 68220B04
	v_add_u32_e32 v17, s31, v17                                // 000000002CB4: 6822221F

0000000000002cb8 <label_00AE>:
	s_cmp_eq_u32 s53, 0                                        // 000000002CB8: BF068035
	s_cbranch_scc0 label_00D2                                  // 000000002CBC: BF840022
	s_mov_b32 s31, 0                                           // 000000002CC0: BE9F0080

0000000000002cc4 <label_00B1>:
	s_waitcnt lgkmcnt(0)                                       // 000000002CC4: BF8CC07F
	s_cmp_eq_u32 s63, s31                                      // 000000002CC8: BF061F3F
	s_cbranch_scc1 label_00B7                                  // 000000002CCC: BF850003
	s_load_dword s63, s[40:41], s62 glc                        // 000000002CD0: C0010FD4 0000003E
	s_branch label_00B1                                        // 000000002CD8: BF82FFFA

0000000000002cdc <label_00B7>:
	v_mov_b32_e32 v52, 0                                       // 000000002CDC: 7E680280
	v_mov_b32_e32 v53, 0                                       // 000000002CE0: 7E6A0280
	v_mov_b32_e32 v54, 0                                       // 000000002CE4: 7E6C0280
	v_mov_b32_e32 v55, 0                                       // 000000002CE8: 7E6E0280
	s_cmp_lt_u32 s54, 1                                        // 000000002CEC: BF0A8136
	s_cbranch_scc0 label_00C8                                  // 000000002CF0: BF84000B
	buffer_store_dwordx4 v[52:55], v12, s[16:19], 0 offen sc0 nt sc1// 000000002CF4: E07ED000 8004340C
	buffer_store_dwordx4 v[52:55], v13, s[16:19], 0 offen sc0 nt sc1// 000000002CFC: E07ED000 8004340D
	buffer_store_dwordx4 v[52:55], v14, s[16:19], 0 offen sc0 nt sc1// 000000002D04: E07ED000 8004340E
	buffer_store_dwordx4 v[52:55], v15, s[16:19], 0 offen sc0 nt sc1// 000000002D0C: E07ED000 8004340F
	buffer_store_dwordx4 v[52:55], v16, s[16:19], 0 offen sc0 nt sc1// 000000002D14: E07ED000 80043410
	s_branch label_00D2                                        // 000000002D1C: BF82000A

0000000000002d20 <label_00C8>:
	buffer_store_dwordx2 v[52:53], v12, s[16:19], 0 offen sc0 nt sc1// 000000002D20: E076D000 8004340C
	buffer_store_dwordx2 v[52:53], v13, s[16:19], 0 offen sc0 nt sc1// 000000002D28: E076D000 8004340D
	buffer_store_dwordx2 v[52:53], v14, s[16:19], 0 offen sc0 nt sc1// 000000002D30: E076D000 8004340E
	buffer_store_dwordx2 v[52:53], v15, s[16:19], 0 offen sc0 nt sc1// 000000002D38: E076D000 8004340F
	buffer_store_dwordx2 v[52:53], v16, s[16:19], 0 offen sc0 nt sc1// 000000002D40: E076D000 80043410

0000000000002d48 <label_00D2>:
	s_mul_i32 s31, s28, s25                                    // 000000002D48: 921F191C
	s_mov_b32 s6, s31                                          // 000000002D4C: BE86001F
	s_mov_b32 s44, 0x80                                        // 000000002D50: BEAC00FF 00000080
	v_lshrrev_b32_e32 v4, 5, v0                                // 000000002D58: 20080085
	v_lshlrev_b32_e32 v4, 2, v4                                // 000000002D5C: 24080882
	v_mul_lo_u32 v18, v4, s28                                  // 000000002D60: D2850012 00003904
	v_and_b32_e32 v4, 31, v0                                   // 000000002D68: 2608009F
	v_lshlrev_b32_e32 v4, 2, v4                                // 000000002D6C: 24080882
	v_add_u32_e32 v18, v18, v4                                 // 000000002D70: 68240912
	s_mul_i32 s31, 8, s28                                      // 000000002D74: 921F1C88
	v_add_u32_e64 v19, v18, s31                                // 000000002D78: D1340013 00003F12
	v_add_u32_e64 v20, v19, s31                                // 000000002D80: D1340014 00003F13
	v_add_u32_e64 v21, v20, s31                                // 000000002D88: D1340015 00003F14
	v_add_u32_e64 v22, v21, s31                                // 000000002D90: D1340016 00003F15
	v_add_u32_e64 v23, v22, s31                                // 000000002D98: D1340017 00003F16
	v_add_u32_e64 v24, v23, s31                                // 000000002DA0: D1340018 00003F17
	v_add_u32_e64 v25, v24, s31                                // 000000002DA8: D1340019 00003F18
	v_add_u32_e64 v26, v25, s31                                // 000000002DB0: D134001A 00003F19
	v_add_u32_e64 v27, v26, s31                                // 000000002DB8: D134001B 00003F1A
	s_mul_i32 s31, s23, 0x50                                   // 000000002DC0: 921FFF17 00000050
	s_add_u32 s31, s31, s24                                    // 000000002DC8: 801F181F
	s_mul_i32 s32, s31, s28                                    // 000000002DCC: 92201C1F
	v_add_u32_e64 v18, v18, s32                                // 000000002DD0: D1340012 00004112
	v_add_u32_e64 v19, v19, s32                                // 000000002DD8: D1340013 00004113
	v_add_u32_e64 v20, v20, s32                                // 000000002DE0: D1340014 00004114
	v_add_u32_e64 v21, v21, s32                                // 000000002DE8: D1340015 00004115
	v_add_u32_e64 v22, v22, s32                                // 000000002DF0: D1340016 00004116
	v_add_u32_e64 v23, v23, s32                                // 000000002DF8: D1340017 00004117
	v_add_u32_e64 v24, v24, s32                                // 000000002E00: D1340018 00004118
	v_add_u32_e64 v25, v25, s32                                // 000000002E08: D1340019 00004119
	v_add_u32_e64 v26, v26, s32                                // 000000002E10: D134001A 0000411A
	v_add_u32_e64 v27, v27, s32                                // 000000002E18: D134001B 0000411B
	v_lshrrev_b32_e32 v4, 4, v0                                // 000000002E20: 20080084
	v_lshlrev_b32_e32 v5, 2, v4                                // 000000002E24: 240A0882
	v_and_b32_e32 v4, 15, v0                                   // 000000002E28: 2608008F
	v_lshrrev_b32_e32 v6, 2, v4                                // 000000002E2C: 200C0882
	v_lshlrev_b32_e32 v6, 5, v6                                // 000000002E30: 240C0C85
	v_add_u32_e32 v5, v6, v5                                   // 000000002E34: 680A0B06
	v_and_b32_e32 v4, 3, v0                                    // 000000002E38: 26080083
	v_mul_u32_u24_e32 v6, 0x288, v4                            // 000000002E3C: 100C08FF 00000288
	v_add_u32_e32 v5, v6, v5                                   // 000000002E44: 680A0B06
	v_lshlrev_b32_e32 v28, 2, v5                               // 000000002E48: 24380A82
	s_mul_i32 s31, s24, 0xa20                                  // 000000002E4C: 921FFF18 00000A20
	s_add_u32 s46, 0, s31                                      // 000000002E54: 802E1F80
	s_add_u32 s47, 0x2880, s46                                 // 000000002E58: 802F2EFF 00002880
	s_add_u32 s48, 0x2880, s47                                 // 000000002E60: 80302FFF 00002880
	s_mul_i32 s31, s29, s26                                    // 000000002E68: 921F1A1D
	s_mov_b32 s10, s31                                         // 000000002E6C: BE8A001F
	s_mov_b32 s45, 0x800                                       // 000000002E70: BEAD00FF 00000800
	v_lshlrev_b32_e32 v29, 4, v0                               // 000000002E78: 243A0084
	s_mov_b32 s31, 0x400                                       // 000000002E7C: BE9F00FF 00000400
	v_add_u32_e64 v30, v29, s31                                // 000000002E84: D134001E 00003F1D
	s_mul_i32 s31, s22, 64                                     // 000000002E8C: 921FC016
	s_mul_i32 s32, 16, s24                                     // 000000002E90: 92201890
	s_add_u32 s31, s31, s32                                    // 000000002E94: 801F201F
	s_mul_i32 s32, s31, s29                                    // 000000002E98: 92201D1F
	v_add_u32_e64 v29, v29, s32                                // 000000002E9C: D134001D 0000411D
	v_add_u32_e64 v30, v30, s32                                // 000000002EA4: D134001E 0000411E
	s_cmp_le_u32 s52, 1                                        // 000000002EAC: BF0B8134
	s_cbranch_scc1 label_016F                                  // 000000002EB0: BF850042
	s_lshr_b32 s32, s27, 6                                     // 000000002EB4: 8F20861B
	v_cvt_f32_u32_e32 v4, s52                                  // 000000002EB8: 7E080C34
	s_sub_i32 s31, 0, s52                                      // 000000002EBC: 819F3480
	v_rcp_iflag_f32_e32 v4, v4                                 // 000000002EC0: 7E084704
	s_nop 0                                                    // 000000002EC4: BF800000
	v_mul_f32_e32 v4, 0x4f7ffffe, v4                           // 000000002EC8: 0A0808FF 4F7FFFFE
	v_cvt_u32_f32_e32 v4, v4                                   // 000000002ED0: 7E080F04
	v_mul_lo_u32 v5, s31, v4                                   // 000000002ED4: D2850005 0002081F
	v_mul_hi_u32 v5, v4, v5                                    // 000000002EDC: D2860005 00020B04
	v_add_u32_e32 v4, v4, v5                                   // 000000002EE4: 68080B04
	v_mul_hi_u32 v4, s32, v4                                   // 000000002EE8: D2860004 00020820
	v_mul_lo_u32 v5, v4, s52                                   // 000000002EF0: D2850005 00006904
	v_sub_u32_e32 v7, s32, v5                                  // 000000002EF8: 6A0E0A20
	v_add_u32_e32 v6, 1, v4                                    // 000000002EFC: 680C0881
	v_cmp_le_u32_e32 vcc, s52, v7                              // 000000002F00: 7D960E34
	v_subrev_u32_e32 v5, s52, v7                               // 000000002F04: 6C0A0E34
	s_nop 0                                                    // 000000002F08: BF800000
	v_cndmask_b32_e32 v4, v4, v6, vcc                          // 000000002F0C: 00080D04
	v_cndmask_b32_e32 v7, v7, v5, vcc                          // 000000002F10: 000E0B07
	v_add_u32_e32 v5, 1, v4                                    // 000000002F14: 680A0881
	v_cmp_le_u32_e32 vcc, s52, v7                              // 000000002F18: 7D960E34
	s_nop 1                                                    // 000000002F1C: BF800001
	v_cndmask_b32_e32 v7, v4, v5, vcc                          // 000000002F20: 000E0B04
	s_nop 3                                                    // 000000002F24: BF800003
	v_readfirstlane_b32 s32, v7                                // 000000002F28: 7E400507
	s_nop 3                                                    // 000000002F2C: BF800003
	s_mul_i32 s32, s32, 64                                     // 000000002F30: 9220C020
	s_mul_i32 s31, s53, s32                                    // 000000002F34: 921F2035
	s_sub_i32 s56, s27, s31                                    // 000000002F38: 81B81F1B
	s_sub_i32 s31, s52, 1                                      // 000000002F3C: 819F8134
	s_cmp_eq_i32 s53, s31                                      // 000000002F40: BF001F35
	s_cselect_b32 s27, s56, s32                                // 000000002F44: 851B2038
	s_mul_i32 s31, s32, 2                                      // 000000002F48: 921F8220
	s_mul_i32 s31, s31, s53                                    // 000000002F4C: 921F351F
	v_add_u32_e64 v18, v18, s31                                // 000000002F50: D1340012 00003F12
	v_add_u32_e64 v19, v19, s31                                // 000000002F58: D1340013 00003F13
	v_add_u32_e64 v20, v20, s31                                // 000000002F60: D1340014 00003F14
	v_add_u32_e64 v21, v21, s31                                // 000000002F68: D1340015 00003F15
	v_add_u32_e64 v22, v22, s31                                // 000000002F70: D1340016 00003F16
	v_add_u32_e64 v23, v23, s31                                // 000000002F78: D1340017 00003F17
	v_add_u32_e64 v24, v24, s31                                // 000000002F80: D1340018 00003F18
	v_add_u32_e64 v25, v25, s31                                // 000000002F88: D1340019 00003F19
	v_add_u32_e64 v26, v26, s31                                // 000000002F90: D134001A 00003F1A
	v_add_u32_e64 v27, v27, s31                                // 000000002F98: D134001B 00003F1B
	s_mul_i32 s31, s32, 2                                      // 000000002FA0: 921F8220
	s_mul_i32 s31, s31, s53                                    // 000000002FA4: 921F351F
	s_mul_i32 s31, s31, 16                                     // 000000002FA8: 921F901F
	v_add_u32_e64 v29, v29, s31                                // 000000002FAC: D134001D 00003F1D
	v_add_u32_e64 v30, v30, s31                                // 000000002FB4: D134001E 00003F1E

0000000000002fbc <label_016F>:
	s_cmp_eq_u32 s61, 1                                        // 000000002FBC: BF06813D
	s_cbranch_scc0 label_01A6                                  // 000000002FC0: BF840035
	s_cmp_eq_i32 s53, 0                                        // 000000002FC4: BF008035
	s_cbranch_scc0 label_01A6                                  // 000000002FC8: BF840033
	s_mul_i32 s31, 2, s26                                      // 000000002FCC: 921F1A82
	s_mov_b32 s38, s31                                         // 000000002FD0: BEA6001F
	v_lshrrev_b32_e32 v4, 4, v0                                // 000000002FD4: 20080084
	v_mul_i32_i24_e32 v62, 8, v4                               // 000000002FD8: 0C7C0888
	s_mul_i32 s31, 32, s24                                     // 000000002FDC: 921F18A0
	v_add_u32_e32 v62, s31, v62                                // 000000002FE0: 687C7C1F
	s_mul_i32 s32, s22, 64                                     // 000000002FE4: 9220C016
	s_mul_i32 s32, s32, 2                                      // 000000002FE8: 92208220
	v_add_u32_e32 v62, s32, v62                                // 000000002FEC: 687C7C20
	v_mov_b32_e32 v64, 0                                       // 000000002FF0: 7E800280
	v_mov_b32_e32 v65, 0                                       // 000000002FF4: 7E820280
	buffer_load_dwordx2 v[64:65], v62, s[36:39], 0 offen       // 000000002FF8: E0541000 8009403E
	s_waitcnt vmcnt(0)                                         // 000000003000: BF8C0F70
	v_mov_b32_e32 v4, 0xffff0000                               // 000000003004: 7E0802FF FFFF0000
	v_and_b32_e32 v4, v64, v4                                  // 00000000300C: 26080940
	v_mov_b32_e32 v5, 0xffff                                   // 000000003010: 7E0A02FF 0000FFFF
	v_and_b32_e32 v5, v64, v5                                  // 000000003018: 260A0B40
	v_mov_b32_e32 v67, v4                                      // 00000000301C: 7E860304
	v_lshlrev_b32_e32 v66, 16, v5                              // 000000003020: 24840A90
	v_mov_b32_e32 v4, 0xffff0000                               // 000000003024: 7E0802FF FFFF0000
	v_and_b32_e32 v4, v65, v4                                  // 00000000302C: 26080941
	v_mov_b32_e32 v5, 0xffff                                   // 000000003030: 7E0A02FF 0000FFFF
	v_and_b32_e32 v5, v65, v5                                  // 000000003038: 260A0B41
	v_mov_b32_e32 v69, v4                                      // 00000000303C: 7E8A0304
	v_lshlrev_b32_e32 v68, 16, v5                              // 000000003040: 24880A90
	v_mov_b32_e32 v32, v66                                     // 000000003044: 7E400342
	v_mov_b32_e32 v33, v67                                     // 000000003048: 7E420343
	v_mov_b32_e32 v34, v68                                     // 00000000304C: 7E440344
	v_mov_b32_e32 v35, v69                                     // 000000003050: 7E460345
	v_mov_b32_e32 v36, v66                                     // 000000003054: 7E480342
	v_mov_b32_e32 v37, v67                                     // 000000003058: 7E4A0343
	v_mov_b32_e32 v38, v68                                     // 00000000305C: 7E4C0344
	v_mov_b32_e32 v39, v69                                     // 000000003060: 7E4E0345
	v_mov_b32_e32 v40, v66                                     // 000000003064: 7E500342
	v_mov_b32_e32 v41, v67                                     // 000000003068: 7E520343
	v_mov_b32_e32 v42, v68                                     // 00000000306C: 7E540344
	v_mov_b32_e32 v43, v69                                     // 000000003070: 7E560345
	v_mov_b32_e32 v44, v66                                     // 000000003074: 7E580342
	v_mov_b32_e32 v45, v67                                     // 000000003078: 7E5A0343
	v_mov_b32_e32 v46, v68                                     // 00000000307C: 7E5C0344
	v_mov_b32_e32 v47, v69                                     // 000000003080: 7E5E0345
	v_mov_b32_e32 v48, v66                                     // 000000003084: 7E600342
	v_mov_b32_e32 v49, v67                                     // 000000003088: 7E620343
	v_mov_b32_e32 v50, v68                                     // 00000000308C: 7E640344
	v_mov_b32_e32 v51, v69                                     // 000000003090: 7E660345
	s_branch label_01BA                                        // 000000003094: BF820014

0000000000003098 <label_01A6>:
	v_mov_b32_e32 v32, 0                                       // 000000003098: 7E400280
	v_mov_b32_e32 v33, 0                                       // 00000000309C: 7E420280
	v_mov_b32_e32 v34, 0                                       // 0000000030A0: 7E440280
	v_mov_b32_e32 v35, 0                                       // 0000000030A4: 7E460280
	v_mov_b32_e32 v36, 0                                       // 0000000030A8: 7E480280
	v_mov_b32_e32 v37, 0                                       // 0000000030AC: 7E4A0280
	v_mov_b32_e32 v38, 0                                       // 0000000030B0: 7E4C0280
	v_mov_b32_e32 v39, 0                                       // 0000000030B4: 7E4E0280
	v_mov_b32_e32 v40, 0                                       // 0000000030B8: 7E500280
	v_mov_b32_e32 v41, 0                                       // 0000000030BC: 7E520280
	v_mov_b32_e32 v42, 0                                       // 0000000030C0: 7E540280
	v_mov_b32_e32 v43, 0                                       // 0000000030C4: 7E560280
	v_mov_b32_e32 v44, 0                                       // 0000000030C8: 7E580280
	v_mov_b32_e32 v45, 0                                       // 0000000030CC: 7E5A0280
	v_mov_b32_e32 v46, 0                                       // 0000000030D0: 7E5C0280
	v_mov_b32_e32 v47, 0                                       // 0000000030D4: 7E5E0280
	v_mov_b32_e32 v48, 0                                       // 0000000030D8: 7E600280
	v_mov_b32_e32 v49, 0                                       // 0000000030DC: 7E620280
	v_mov_b32_e32 v50, 0                                       // 0000000030E0: 7E640280
	v_mov_b32_e32 v51, 0                                       // 0000000030E4: 7E660280

00000000000030e8 <label_01BA>:
	s_add_u32 m0, 0, s46                                       // 0000000030E8: 807C2E80
	buffer_load_dword v18, s[4:7], 0 offen lds                 // 0000000030EC: E0511000 80010012
	s_add_u32 m0, 0x100, s46                                   // 0000000030F4: 807C2EFF 00000100
	buffer_load_dword v19, s[4:7], 0 offen lds                 // 0000000030FC: E0511000 80010013
	s_add_u32 m0, 0x200, s46                                   // 000000003104: 807C2EFF 00000200
	buffer_load_dword v20, s[4:7], 0 offen lds                 // 00000000310C: E0511000 80010014
	s_add_u32 m0, 0x300, s46                                   // 000000003114: 807C2EFF 00000300
	buffer_load_dword v21, s[4:7], 0 offen lds                 // 00000000311C: E0511000 80010015
	s_add_u32 m0, 0x400, s46                                   // 000000003124: 807C2EFF 00000400
	buffer_load_dword v22, s[4:7], 0 offen lds                 // 00000000312C: E0511000 80010016
	s_add_u32 m0, 0x500, s46                                   // 000000003134: 807C2EFF 00000500
	buffer_load_dword v23, s[4:7], 0 offen lds                 // 00000000313C: E0511000 80010017
	s_add_u32 m0, 0x600, s46                                   // 000000003144: 807C2EFF 00000600
	buffer_load_dword v24, s[4:7], 0 offen lds                 // 00000000314C: E0511000 80010018
	s_add_u32 m0, 0x700, s46                                   // 000000003154: 807C2EFF 00000700
	buffer_load_dword v25, s[4:7], 0 offen lds                 // 00000000315C: E0511000 80010019
	s_add_u32 m0, 0x800, s46                                   // 000000003164: 807C2EFF 00000800
	buffer_load_dword v26, s[4:7], 0 offen lds                 // 00000000316C: E0511000 8001001A
	s_add_u32 m0, 0x900, s46                                   // 000000003174: 807C2EFF 00000900
	buffer_load_dword v27, s[4:7], 0 offen lds                 // 00000000317C: E0511000 8001001B
	s_add_u32 s4, s44, s4                                      // 000000003184: 8004042C
	s_addc_u32 s5, 0, s5                                       // 000000003188: 82050580
	s_sub_u32 s6, s6, s44                                      // 00000000318C: 80862C06
	buffer_load_dwordx4 a[80:83], v29, s[8:11], 0 offen        // 000000003190: E05C1000 8082501D
	buffer_load_dwordx4 a[84:87], v30, s[8:11], 0 offen        // 000000003198: E05C1000 8082541E
	s_add_u32 s8, s45, s8                                      // 0000000031A0: 8008082D
	s_addc_u32 s9, 0, s9                                       // 0000000031A4: 82090980
	s_sub_u32 s10, s10, s45                                    // 0000000031A8: 808A2D0A
	s_add_u32 m0, 0, s47                                       // 0000000031AC: 807C2F80
	buffer_load_dword v18, s[4:7], 0 offen lds                 // 0000000031B0: E0511000 80010012
	s_add_u32 m0, 0x100, s47                                   // 0000000031B8: 807C2FFF 00000100
	buffer_load_dword v19, s[4:7], 0 offen lds                 // 0000000031C0: E0511000 80010013
	s_add_u32 m0, 0x200, s47                                   // 0000000031C8: 807C2FFF 00000200
	buffer_load_dword v20, s[4:7], 0 offen lds                 // 0000000031D0: E0511000 80010014
	s_add_u32 m0, 0x300, s47                                   // 0000000031D8: 807C2FFF 00000300
	buffer_load_dword v21, s[4:7], 0 offen lds                 // 0000000031E0: E0511000 80010015
	s_add_u32 m0, 0x400, s47                                   // 0000000031E8: 807C2FFF 00000400
	buffer_load_dword v22, s[4:7], 0 offen lds                 // 0000000031F0: E0511000 80010016
	s_add_u32 m0, 0x500, s47                                   // 0000000031F8: 807C2FFF 00000500
	buffer_load_dword v23, s[4:7], 0 offen lds                 // 000000003200: E0511000 80010017
	s_add_u32 m0, 0x600, s47                                   // 000000003208: 807C2FFF 00000600
	buffer_load_dword v24, s[4:7], 0 offen lds                 // 000000003210: E0511000 80010018
	s_add_u32 m0, 0x700, s47                                   // 000000003218: 807C2FFF 00000700
	;; [unrolled: 2-line block ×3, first 2 shown]
	buffer_load_dword v26, s[4:7], 0 offen lds                 // 000000003230: E0511000 8001001A
	s_add_u32 m0, 0x900, s47                                   // 000000003238: 807C2FFF 00000900
	buffer_load_dword v27, s[4:7], 0 offen lds                 // 000000003240: E0511000 8001001B
	s_add_u32 s4, s44, s4                                      // 000000003248: 8004042C
	s_addc_u32 s5, 0, s5                                       // 00000000324C: 82050580
	s_sub_u32 s6, s6, s44                                      // 000000003250: 80862C06
	buffer_load_dwordx4 a[88:91], v29, s[8:11], 0 offen        // 000000003254: E05C1000 8082581D
	buffer_load_dwordx4 a[92:95], v30, s[8:11], 0 offen        // 00000000325C: E05C1000 80825C1E
	s_add_u32 s8, s45, s8                                      // 000000003264: 8008082D
	s_addc_u32 s9, 0, s9                                       // 000000003268: 82090980
	s_sub_u32 s10, s10, s45                                    // 00000000326C: 808A2D0A
	s_add_u32 m0, 0, s48                                       // 000000003270: 807C3080
	buffer_load_dword v18, s[4:7], 0 offen lds                 // 000000003274: E0511000 80010012
	s_add_u32 m0, 0x100, s48                                   // 00000000327C: 807C30FF 00000100
	buffer_load_dword v19, s[4:7], 0 offen lds                 // 000000003284: E0511000 80010013
	s_add_u32 m0, 0x200, s48                                   // 00000000328C: 807C30FF 00000200
	buffer_load_dword v20, s[4:7], 0 offen lds                 // 000000003294: E0511000 80010014
	s_add_u32 m0, 0x300, s48                                   // 00000000329C: 807C30FF 00000300
	buffer_load_dword v21, s[4:7], 0 offen lds                 // 0000000032A4: E0511000 80010015
	s_add_u32 m0, 0x400, s48                                   // 0000000032AC: 807C30FF 00000400
	buffer_load_dword v22, s[4:7], 0 offen lds                 // 0000000032B4: E0511000 80010016
	s_add_u32 m0, 0x500, s48                                   // 0000000032BC: 807C30FF 00000500
	buffer_load_dword v23, s[4:7], 0 offen lds                 // 0000000032C4: E0511000 80010017
	s_add_u32 m0, 0x600, s48                                   // 0000000032CC: 807C30FF 00000600
	buffer_load_dword v24, s[4:7], 0 offen lds                 // 0000000032D4: E0511000 80010018
	s_add_u32 m0, 0x700, s48                                   // 0000000032DC: 807C30FF 00000700
	buffer_load_dword v25, s[4:7], 0 offen lds                 // 0000000032E4: E0511000 80010019
	s_add_u32 m0, 0x800, s48                                   // 0000000032EC: 807C30FF 00000800
	buffer_load_dword v26, s[4:7], 0 offen lds                 // 0000000032F4: E0511000 8001001A
	s_add_u32 m0, 0x900, s48                                   // 0000000032FC: 807C30FF 00000900
	buffer_load_dword v27, s[4:7], 0 offen lds                 // 000000003304: E0511000 8001001B
	s_add_u32 s4, s44, s4                                      // 00000000330C: 8004042C
	s_addc_u32 s5, 0, s5                                       // 000000003310: 82050580
	s_sub_u32 s6, s6, s44                                      // 000000003314: 80862C06
	s_mov_b32 s34, s27                                         // 000000003318: BEA2001B
	s_mov_b32 s33, 0                                           // 00000000331C: BEA10080
	s_mul_i32 s31, s23, 0x50                                   // 000000003320: 921FFF17 00000050
	s_sub_i32 s55, s25, s31                                    // 000000003328: 81B71F19
	s_waitcnt vmcnt(24)                                        // 00000000332C: BF8C4F78
	s_barrier                                                  // 000000003330: BF8A0000
	s_or_b32 s31, s53, s24                                     // 000000003334: 871F1835
	s_cmp_eq_u32 s31, 0                                        // 000000003338: BF06801F
	s_cbranch_scc0 label_0252                                  // 00000000333C: BF840002
	s_store_dword s52, s[40:41], s62 glc                       // 000000003340: C0410D14 0000003E

0000000000003348 <label_0252>:
	ds_read_b128 a[0:3], v28                                   // 000000003348: DBFE0000 0000001C
	ds_read_b128 a[4:7], v28 offset:64                         // 000000003350: DBFE0040 0400001C
	ds_read_b128 a[8:11], v28 offset:512                       // 000000003358: DBFE0200 0800001C
	ds_read_b128 a[12:15], v28 offset:576                      // 000000003360: DBFE0240 0C00001C
	ds_read_b128 a[16:19], v28 offset:1024                     // 000000003368: DBFE0400 1000001C
	ds_read_b128 a[20:23], v28 offset:1088                     // 000000003370: DBFE0440 1400001C
	ds_read_b128 a[24:27], v28 offset:1536                     // 000000003378: DBFE0600 1800001C
	ds_read_b128 a[28:31], v28 offset:1600                     // 000000003380: DBFE0640 1C00001C
	ds_read_b128 a[32:35], v28 offset:2048                     // 000000003388: DBFE0800 2000001C
	ds_read_b128 a[36:39], v28 offset:2112                     // 000000003390: DBFE0840 2400001C
	s_cmp_lt_i32 s24, 2                                        // 000000003398: BF048218
	s_cbranch_scc0 label_0539                                  // 00000000339C: BF8402D1

00000000000033a0 <label_0268>:
	s_waitcnt vmcnt(12) lgkmcnt(0)                             // 0000000033A0: BF8C007C
	s_barrier                                                  // 0000000033A4: BF8A0000
	v_mfma_f32_16x16x16_bf16 v[32:35], a[80:81], a[0:1], v[32:35]// 0000000033A8: D3E10020 1C820150
	s_add_u32 m0, 0, s46                                       // 0000000033B0: 807C2E80
	buffer_load_dword v18, s[4:7], 0 offen lds                 // 0000000033B4: E0511000 80010012
	v_mfma_f32_16x16x16_bf16 v[32:35], a[82:83], a[2:3], v[32:35]// 0000000033BC: D3E10020 1C820552
	s_add_u32 m0, 0x100, s46                                   // 0000000033C4: 807C2EFF 00000100
	buffer_load_dword v19, s[4:7], 0 offen lds                 // 0000000033CC: E0511000 80010013
	ds_read_b128 a[40:43], v28 offset:10368                    // 0000000033D4: DBFE2880 2800001C
	ds_read_b128 a[44:47], v28 offset:10432                    // 0000000033DC: DBFE28C0 2C00001C
	v_mfma_f32_16x16x16_bf16 v[32:35], a[84:85], a[4:5], v[32:35]// 0000000033E4: D3E10020 1C820954
	s_add_u32 m0, 0x200, s46                                   // 0000000033EC: 807C2EFF 00000200
	buffer_load_dword v20, s[4:7], 0 offen lds                 // 0000000033F4: E0511000 80010014
	v_mfma_f32_16x16x16_bf16 v[32:35], a[86:87], a[6:7], v[32:35]// 0000000033FC: D3E10020 1C820D56
	s_add_u32 m0, 0x300, s46                                   // 000000003404: 807C2EFF 00000300
	buffer_load_dword v21, s[4:7], 0 offen lds                 // 00000000340C: E0511000 80010015
	ds_read_b128 a[48:51], v28 offset:10880                    // 000000003414: DBFE2A80 3000001C
	ds_read_b128 a[52:55], v28 offset:10944                    // 00000000341C: DBFE2AC0 3400001C
	v_mfma_f32_16x16x16_bf16 v[36:39], a[80:81], a[8:9], v[36:39]// 000000003424: D3E10024 1C921150
	s_add_u32 m0, 0x400, s46                                   // 00000000342C: 807C2EFF 00000400
	buffer_load_dword v22, s[4:7], 0 offen lds                 // 000000003434: E0511000 80010016
	v_mfma_f32_16x16x16_bf16 v[36:39], a[82:83], a[10:11], v[36:39]// 00000000343C: D3E10024 1C921552
	s_add_u32 m0, 0x500, s46                                   // 000000003444: 807C2EFF 00000500
	buffer_load_dword v23, s[4:7], 0 offen lds                 // 00000000344C: E0511000 80010017
	ds_read_b128 a[56:59], v28 offset:11392                    // 000000003454: DBFE2C80 3800001C
	ds_read_b128 a[60:63], v28 offset:11456                    // 00000000345C: DBFE2CC0 3C00001C
	v_mfma_f32_16x16x16_bf16 v[36:39], a[84:85], a[12:13], v[36:39]// 000000003464: D3E10024 1C921954
	s_add_u32 m0, 0x600, s46                                   // 00000000346C: 807C2EFF 00000600
	buffer_load_dword v24, s[4:7], 0 offen lds                 // 000000003474: E0511000 80010018
	v_mfma_f32_16x16x16_bf16 v[36:39], a[86:87], a[14:15], v[36:39]// 00000000347C: D3E10024 1C921D56
	s_add_u32 m0, 0x700, s46                                   // 000000003484: 807C2EFF 00000700
	buffer_load_dword v25, s[4:7], 0 offen lds                 // 00000000348C: E0511000 80010019
	ds_read_b128 a[64:67], v28 offset:11904                    // 000000003494: DBFE2E80 4000001C
	ds_read_b128 a[68:71], v28 offset:11968                    // 00000000349C: DBFE2EC0 4400001C
	v_mfma_f32_16x16x16_bf16 v[40:43], a[80:81], a[16:17], v[40:43]// 0000000034A4: D3E10028 1CA22150
	s_add_u32 m0, 0x800, s46                                   // 0000000034AC: 807C2EFF 00000800
	buffer_load_dword v26, s[4:7], 0 offen lds                 // 0000000034B4: E0511000 8001001A
	v_mfma_f32_16x16x16_bf16 v[40:43], a[82:83], a[18:19], v[40:43]// 0000000034BC: D3E10028 1CA22552
	s_add_u32 m0, 0x900, s46                                   // 0000000034C4: 807C2EFF 00000900
	buffer_load_dword v27, s[4:7], 0 offen lds                 // 0000000034CC: E0511000 8001001B
	ds_read_b128 a[72:75], v28 offset:12416                    // 0000000034D4: DBFE3080 4800001C
	ds_read_b128 a[76:79], v28 offset:12480                    // 0000000034DC: DBFE30C0 4C00001C
	v_mfma_f32_16x16x16_bf16 v[40:43], a[84:85], a[20:21], v[40:43]// 0000000034E4: D3E10028 1CA22954
	s_add_u32 s31, 0x100, s33                                  // 0000000034EC: 801F21FF 00000100
	s_cmp_lt_u32 s31, s34                                      // 0000000034F4: BF0A221F
	s_cselect_b32 s44, s44, 0                                  // 0000000034F8: 852C802C
	buffer_load_dwordx4 a[96:99], v29, s[8:11], 0 offen        // 0000000034FC: E05C1000 8082601D
	v_mfma_f32_16x16x16_bf16 v[40:43], a[86:87], a[22:23], v[40:43]// 000000003504: D3E10028 1CA22D56
	buffer_load_dwordx4 a[100:103], v30, s[8:11], 0 offen      // 00000000350C: E05C1000 8082641E
	s_add_u32 s4, s44, s4                                      // 000000003514: 8004042C
	s_addc_u32 s5, 0, s5                                       // 000000003518: 82050580
	v_mfma_f32_16x16x16_bf16 v[44:47], a[80:81], a[24:25], v[44:47]// 00000000351C: D3E1002C 1CB23150
	s_add_u32 s31, 0xc0, s33                                   // 000000003524: 801F21FF 000000C0
	s_cmp_lt_u32 s31, s34                                      // 00000000352C: BF0A221F
	s_cselect_b32 s45, s45, 0                                  // 000000003530: 852D802D
	v_mfma_f32_16x16x16_bf16 v[44:47], a[82:83], a[26:27], v[44:47]// 000000003534: D3E1002C 1CB23552
	s_add_u32 s8, s45, s8                                      // 00000000353C: 8008082D
	s_addc_u32 s9, 0, s9                                       // 000000003540: 82090980
	v_mfma_f32_16x16x16_bf16 v[44:47], a[84:85], a[28:29], v[44:47]// 000000003544: D3E1002C 1CB23954
	v_mfma_f32_16x16x16_bf16 v[44:47], a[86:87], a[30:31], v[44:47]// 00000000354C: D3E1002C 1CB23D56
	v_mfma_f32_16x16x16_bf16 v[48:51], a[80:81], a[32:33], v[48:51]// 000000003554: D3E10030 1CC24150
	v_mfma_f32_16x16x16_bf16 v[48:51], a[82:83], a[34:35], v[48:51]// 00000000355C: D3E10030 1CC24552
	v_mfma_f32_16x16x16_bf16 v[48:51], a[84:85], a[36:37], v[48:51]// 000000003564: D3E10030 1CC24954
	v_mfma_f32_16x16x16_bf16 v[48:51], a[86:87], a[38:39], v[48:51]// 00000000356C: D3E10030 1CC24D56
	s_addk_i32 s33, 0x40                                       // 000000003574: B7210040
	s_cmp_lt_i32 s33, s34                                      // 000000003578: BF042221
	s_cbranch_scc0 label_080A                                  // 00000000357C: BF84052A
	s_waitcnt vmcnt(12) lgkmcnt(0)                             // 000000003580: BF8C007C
	s_barrier                                                  // 000000003584: BF8A0000
	v_mfma_f32_16x16x16_bf16 v[32:35], a[88:89], a[40:41], v[32:35]// 000000003588: D3E10020 1C825158
	s_add_u32 m0, 0, s47                                       // 000000003590: 807C2F80
	buffer_load_dword v18, s[4:7], 0 offen lds                 // 000000003594: E0511000 80010012
	v_mfma_f32_16x16x16_bf16 v[32:35], a[90:91], a[42:43], v[32:35]// 00000000359C: D3E10020 1C82555A
	s_add_u32 m0, 0x100, s47                                   // 0000000035A4: 807C2FFF 00000100
	buffer_load_dword v19, s[4:7], 0 offen lds                 // 0000000035AC: E0511000 80010013
	ds_read_b128 a[0:3], v28 offset:20736                      // 0000000035B4: DBFE5100 0000001C
	ds_read_b128 a[4:7], v28 offset:20800                      // 0000000035BC: DBFE5140 0400001C
	v_mfma_f32_16x16x16_bf16 v[32:35], a[92:93], a[44:45], v[32:35]// 0000000035C4: D3E10020 1C82595C
	s_add_u32 m0, 0x200, s47                                   // 0000000035CC: 807C2FFF 00000200
	buffer_load_dword v20, s[4:7], 0 offen lds                 // 0000000035D4: E0511000 80010014
	v_mfma_f32_16x16x16_bf16 v[32:35], a[94:95], a[46:47], v[32:35]// 0000000035DC: D3E10020 1C825D5E
	s_add_u32 m0, 0x300, s47                                   // 0000000035E4: 807C2FFF 00000300
	buffer_load_dword v21, s[4:7], 0 offen lds                 // 0000000035EC: E0511000 80010015
	ds_read_b128 a[8:11], v28 offset:21248                     // 0000000035F4: DBFE5300 0800001C
	ds_read_b128 a[12:15], v28 offset:21312                    // 0000000035FC: DBFE5340 0C00001C
	v_mfma_f32_16x16x16_bf16 v[36:39], a[88:89], a[48:49], v[36:39]// 000000003604: D3E10024 1C926158
	s_add_u32 m0, 0x400, s47                                   // 00000000360C: 807C2FFF 00000400
	buffer_load_dword v22, s[4:7], 0 offen lds                 // 000000003614: E0511000 80010016
	v_mfma_f32_16x16x16_bf16 v[36:39], a[90:91], a[50:51], v[36:39]// 00000000361C: D3E10024 1C92655A
	s_add_u32 m0, 0x500, s47                                   // 000000003624: 807C2FFF 00000500
	buffer_load_dword v23, s[4:7], 0 offen lds                 // 00000000362C: E0511000 80010017
	ds_read_b128 a[16:19], v28 offset:21760                    // 000000003634: DBFE5500 1000001C
	ds_read_b128 a[20:23], v28 offset:21824                    // 00000000363C: DBFE5540 1400001C
	v_mfma_f32_16x16x16_bf16 v[36:39], a[92:93], a[52:53], v[36:39]// 000000003644: D3E10024 1C92695C
	s_add_u32 m0, 0x600, s47                                   // 00000000364C: 807C2FFF 00000600
	buffer_load_dword v24, s[4:7], 0 offen lds                 // 000000003654: E0511000 80010018
	v_mfma_f32_16x16x16_bf16 v[36:39], a[94:95], a[54:55], v[36:39]// 00000000365C: D3E10024 1C926D5E
	s_add_u32 m0, 0x700, s47                                   // 000000003664: 807C2FFF 00000700
	buffer_load_dword v25, s[4:7], 0 offen lds                 // 00000000366C: E0511000 80010019
	ds_read_b128 a[24:27], v28 offset:22272                    // 000000003674: DBFE5700 1800001C
	ds_read_b128 a[28:31], v28 offset:22336                    // 00000000367C: DBFE5740 1C00001C
	v_mfma_f32_16x16x16_bf16 v[40:43], a[88:89], a[56:57], v[40:43]// 000000003684: D3E10028 1CA27158
	s_add_u32 m0, 0x800, s47                                   // 00000000368C: 807C2FFF 00000800
	buffer_load_dword v26, s[4:7], 0 offen lds                 // 000000003694: E0511000 8001001A
	v_mfma_f32_16x16x16_bf16 v[40:43], a[90:91], a[58:59], v[40:43]// 00000000369C: D3E10028 1CA2755A
	s_add_u32 m0, 0x900, s47                                   // 0000000036A4: 807C2FFF 00000900
	buffer_load_dword v27, s[4:7], 0 offen lds                 // 0000000036AC: E0511000 8001001B
	ds_read_b128 a[32:35], v28 offset:22784                    // 0000000036B4: DBFE5900 2000001C
	ds_read_b128 a[36:39], v28 offset:22848                    // 0000000036BC: DBFE5940 2400001C
	v_mfma_f32_16x16x16_bf16 v[40:43], a[92:93], a[60:61], v[40:43]// 0000000036C4: D3E10028 1CA2795C
	s_add_u32 s31, 0x100, s33                                  // 0000000036CC: 801F21FF 00000100
	s_cmp_lt_u32 s31, s34                                      // 0000000036D4: BF0A221F
	s_cselect_b32 s44, s44, 0                                  // 0000000036D8: 852C802C
	buffer_load_dwordx4 a[80:83], v29, s[8:11], 0 offen        // 0000000036DC: E05C1000 8082501D
	v_mfma_f32_16x16x16_bf16 v[40:43], a[94:95], a[62:63], v[40:43]// 0000000036E4: D3E10028 1CA27D5E
	buffer_load_dwordx4 a[84:87], v30, s[8:11], 0 offen        // 0000000036EC: E05C1000 8082541E
	s_add_u32 s4, s44, s4                                      // 0000000036F4: 8004042C
	s_addc_u32 s5, 0, s5                                       // 0000000036F8: 82050580
	v_mfma_f32_16x16x16_bf16 v[44:47], a[88:89], a[64:65], v[44:47]// 0000000036FC: D3E1002C 1CB28158
	s_add_u32 s31, 0xc0, s33                                   // 000000003704: 801F21FF 000000C0
	s_cmp_lt_u32 s31, s34                                      // 00000000370C: BF0A221F
	s_cselect_b32 s45, s45, 0                                  // 000000003710: 852D802D
	v_mfma_f32_16x16x16_bf16 v[44:47], a[90:91], a[66:67], v[44:47]// 000000003714: D3E1002C 1CB2855A
	s_add_u32 s8, s45, s8                                      // 00000000371C: 8008082D
	s_addc_u32 s9, 0, s9                                       // 000000003720: 82090980
	v_mfma_f32_16x16x16_bf16 v[44:47], a[92:93], a[68:69], v[44:47]// 000000003724: D3E1002C 1CB2895C
	v_mfma_f32_16x16x16_bf16 v[44:47], a[94:95], a[70:71], v[44:47]// 00000000372C: D3E1002C 1CB28D5E
	v_mfma_f32_16x16x16_bf16 v[48:51], a[88:89], a[72:73], v[48:51]// 000000003734: D3E10030 1CC29158
	v_mfma_f32_16x16x16_bf16 v[48:51], a[90:91], a[74:75], v[48:51]// 00000000373C: D3E10030 1CC2955A
	v_mfma_f32_16x16x16_bf16 v[48:51], a[92:93], a[76:77], v[48:51]// 000000003744: D3E10030 1CC2995C
	v_mfma_f32_16x16x16_bf16 v[48:51], a[94:95], a[78:79], v[48:51]// 00000000374C: D3E10030 1CC29D5E
	s_addk_i32 s33, 0x40                                       // 000000003754: B7210040
	s_cmp_lt_i32 s33, s34                                      // 000000003758: BF042221
	s_cbranch_scc0 label_080A                                  // 00000000375C: BF8404B2
	s_waitcnt vmcnt(12) lgkmcnt(0)                             // 000000003760: BF8C007C
	s_barrier                                                  // 000000003764: BF8A0000
	v_mfma_f32_16x16x16_bf16 v[32:35], a[96:97], a[0:1], v[32:35]// 000000003768: D3E10020 1C820160
	s_add_u32 m0, 0, s48                                       // 000000003770: 807C3080
	buffer_load_dword v18, s[4:7], 0 offen lds                 // 000000003774: E0511000 80010012
	v_mfma_f32_16x16x16_bf16 v[32:35], a[98:99], a[2:3], v[32:35]// 00000000377C: D3E10020 1C820562
	s_add_u32 m0, 0x100, s48                                   // 000000003784: 807C30FF 00000100
	buffer_load_dword v19, s[4:7], 0 offen lds                 // 00000000378C: E0511000 80010013
	ds_read_b128 a[40:43], v28                                 // 000000003794: DBFE0000 2800001C
	ds_read_b128 a[44:47], v28 offset:64                       // 00000000379C: DBFE0040 2C00001C
	v_mfma_f32_16x16x16_bf16 v[32:35], a[100:101], a[4:5], v[32:35]// 0000000037A4: D3E10020 1C820964
	s_add_u32 m0, 0x200, s48                                   // 0000000037AC: 807C30FF 00000200
	buffer_load_dword v20, s[4:7], 0 offen lds                 // 0000000037B4: E0511000 80010014
	v_mfma_f32_16x16x16_bf16 v[32:35], a[102:103], a[6:7], v[32:35]// 0000000037BC: D3E10020 1C820D66
	s_add_u32 m0, 0x300, s48                                   // 0000000037C4: 807C30FF 00000300
	buffer_load_dword v21, s[4:7], 0 offen lds                 // 0000000037CC: E0511000 80010015
	ds_read_b128 a[48:51], v28 offset:512                      // 0000000037D4: DBFE0200 3000001C
	ds_read_b128 a[52:55], v28 offset:576                      // 0000000037DC: DBFE0240 3400001C
	v_mfma_f32_16x16x16_bf16 v[36:39], a[96:97], a[8:9], v[36:39]// 0000000037E4: D3E10024 1C921160
	s_add_u32 m0, 0x400, s48                                   // 0000000037EC: 807C30FF 00000400
	buffer_load_dword v22, s[4:7], 0 offen lds                 // 0000000037F4: E0511000 80010016
	v_mfma_f32_16x16x16_bf16 v[36:39], a[98:99], a[10:11], v[36:39]// 0000000037FC: D3E10024 1C921562
	s_add_u32 m0, 0x500, s48                                   // 000000003804: 807C30FF 00000500
	buffer_load_dword v23, s[4:7], 0 offen lds                 // 00000000380C: E0511000 80010017
	ds_read_b128 a[56:59], v28 offset:1024                     // 000000003814: DBFE0400 3800001C
	ds_read_b128 a[60:63], v28 offset:1088                     // 00000000381C: DBFE0440 3C00001C
	v_mfma_f32_16x16x16_bf16 v[36:39], a[100:101], a[12:13], v[36:39]// 000000003824: D3E10024 1C921964
	s_add_u32 m0, 0x600, s48                                   // 00000000382C: 807C30FF 00000600
	buffer_load_dword v24, s[4:7], 0 offen lds                 // 000000003834: E0511000 80010018
	v_mfma_f32_16x16x16_bf16 v[36:39], a[102:103], a[14:15], v[36:39]// 00000000383C: D3E10024 1C921D66
	s_add_u32 m0, 0x700, s48                                   // 000000003844: 807C30FF 00000700
	buffer_load_dword v25, s[4:7], 0 offen lds                 // 00000000384C: E0511000 80010019
	ds_read_b128 a[64:67], v28 offset:1536                     // 000000003854: DBFE0600 4000001C
	ds_read_b128 a[68:71], v28 offset:1600                     // 00000000385C: DBFE0640 4400001C
	v_mfma_f32_16x16x16_bf16 v[40:43], a[96:97], a[16:17], v[40:43]// 000000003864: D3E10028 1CA22160
	s_add_u32 m0, 0x800, s48                                   // 00000000386C: 807C30FF 00000800
	buffer_load_dword v26, s[4:7], 0 offen lds                 // 000000003874: E0511000 8001001A
	v_mfma_f32_16x16x16_bf16 v[40:43], a[98:99], a[18:19], v[40:43]// 00000000387C: D3E10028 1CA22562
	s_add_u32 m0, 0x900, s48                                   // 000000003884: 807C30FF 00000900
	buffer_load_dword v27, s[4:7], 0 offen lds                 // 00000000388C: E0511000 8001001B
	ds_read_b128 a[72:75], v28 offset:2048                     // 000000003894: DBFE0800 4800001C
	ds_read_b128 a[76:79], v28 offset:2112                     // 00000000389C: DBFE0840 4C00001C
	v_mfma_f32_16x16x16_bf16 v[40:43], a[100:101], a[20:21], v[40:43]// 0000000038A4: D3E10028 1CA22964
	s_add_u32 s31, 0x100, s33                                  // 0000000038AC: 801F21FF 00000100
	s_cmp_lt_u32 s31, s34                                      // 0000000038B4: BF0A221F
	s_cselect_b32 s44, s44, 0                                  // 0000000038B8: 852C802C
	buffer_load_dwordx4 a[88:91], v29, s[8:11], 0 offen        // 0000000038BC: E05C1000 8082581D
	v_mfma_f32_16x16x16_bf16 v[40:43], a[102:103], a[22:23], v[40:43]// 0000000038C4: D3E10028 1CA22D66
	buffer_load_dwordx4 a[92:95], v30, s[8:11], 0 offen        // 0000000038CC: E05C1000 80825C1E
	s_add_u32 s4, s44, s4                                      // 0000000038D4: 8004042C
	s_addc_u32 s5, 0, s5                                       // 0000000038D8: 82050580
	v_mfma_f32_16x16x16_bf16 v[44:47], a[96:97], a[24:25], v[44:47]// 0000000038DC: D3E1002C 1CB23160
	s_add_u32 s31, 0xc0, s33                                   // 0000000038E4: 801F21FF 000000C0
	s_cmp_lt_u32 s31, s34                                      // 0000000038EC: BF0A221F
	s_cselect_b32 s45, s45, 0                                  // 0000000038F0: 852D802D
	v_mfma_f32_16x16x16_bf16 v[44:47], a[98:99], a[26:27], v[44:47]// 0000000038F4: D3E1002C 1CB23562
	s_add_u32 s8, s45, s8                                      // 0000000038FC: 8008082D
	s_addc_u32 s9, 0, s9                                       // 000000003900: 82090980
	v_mfma_f32_16x16x16_bf16 v[44:47], a[100:101], a[28:29], v[44:47]// 000000003904: D3E1002C 1CB23964
	v_mfma_f32_16x16x16_bf16 v[44:47], a[102:103], a[30:31], v[44:47]// 00000000390C: D3E1002C 1CB23D66
	v_mfma_f32_16x16x16_bf16 v[48:51], a[96:97], a[32:33], v[48:51]// 000000003914: D3E10030 1CC24160
	v_mfma_f32_16x16x16_bf16 v[48:51], a[98:99], a[34:35], v[48:51]// 00000000391C: D3E10030 1CC24562
	v_mfma_f32_16x16x16_bf16 v[48:51], a[100:101], a[36:37], v[48:51]// 000000003924: D3E10030 1CC24964
	v_mfma_f32_16x16x16_bf16 v[48:51], a[102:103], a[38:39], v[48:51]// 00000000392C: D3E10030 1CC24D66
	s_addk_i32 s33, 0x40                                       // 000000003934: B7210040
	s_cmp_lt_i32 s33, s34                                      // 000000003938: BF042221
	s_cbranch_scc0 label_080A                                  // 00000000393C: BF84043A
	s_waitcnt vmcnt(12) lgkmcnt(0)                             // 000000003940: BF8C007C
	s_barrier                                                  // 000000003944: BF8A0000
	v_mfma_f32_16x16x16_bf16 v[32:35], a[80:81], a[40:41], v[32:35]// 000000003948: D3E10020 1C825150
	s_add_u32 m0, 0, s46                                       // 000000003950: 807C2E80
	buffer_load_dword v18, s[4:7], 0 offen lds                 // 000000003954: E0511000 80010012
	v_mfma_f32_16x16x16_bf16 v[32:35], a[82:83], a[42:43], v[32:35]// 00000000395C: D3E10020 1C825552
	s_add_u32 m0, 0x100, s46                                   // 000000003964: 807C2EFF 00000100
	buffer_load_dword v19, s[4:7], 0 offen lds                 // 00000000396C: E0511000 80010013
	ds_read_b128 a[0:3], v28 offset:10368                      // 000000003974: DBFE2880 0000001C
	ds_read_b128 a[4:7], v28 offset:10432                      // 00000000397C: DBFE28C0 0400001C
	v_mfma_f32_16x16x16_bf16 v[32:35], a[84:85], a[44:45], v[32:35]// 000000003984: D3E10020 1C825954
	s_add_u32 m0, 0x200, s46                                   // 00000000398C: 807C2EFF 00000200
	buffer_load_dword v20, s[4:7], 0 offen lds                 // 000000003994: E0511000 80010014
	v_mfma_f32_16x16x16_bf16 v[32:35], a[86:87], a[46:47], v[32:35]// 00000000399C: D3E10020 1C825D56
	s_add_u32 m0, 0x300, s46                                   // 0000000039A4: 807C2EFF 00000300
	buffer_load_dword v21, s[4:7], 0 offen lds                 // 0000000039AC: E0511000 80010015
	ds_read_b128 a[8:11], v28 offset:10880                     // 0000000039B4: DBFE2A80 0800001C
	ds_read_b128 a[12:15], v28 offset:10944                    // 0000000039BC: DBFE2AC0 0C00001C
	v_mfma_f32_16x16x16_bf16 v[36:39], a[80:81], a[48:49], v[36:39]// 0000000039C4: D3E10024 1C926150
	s_add_u32 m0, 0x400, s46                                   // 0000000039CC: 807C2EFF 00000400
	buffer_load_dword v22, s[4:7], 0 offen lds                 // 0000000039D4: E0511000 80010016
	v_mfma_f32_16x16x16_bf16 v[36:39], a[82:83], a[50:51], v[36:39]// 0000000039DC: D3E10024 1C926552
	s_add_u32 m0, 0x500, s46                                   // 0000000039E4: 807C2EFF 00000500
	buffer_load_dword v23, s[4:7], 0 offen lds                 // 0000000039EC: E0511000 80010017
	ds_read_b128 a[16:19], v28 offset:11392                    // 0000000039F4: DBFE2C80 1000001C
	ds_read_b128 a[20:23], v28 offset:11456                    // 0000000039FC: DBFE2CC0 1400001C
	v_mfma_f32_16x16x16_bf16 v[36:39], a[84:85], a[52:53], v[36:39]// 000000003A04: D3E10024 1C926954
	s_add_u32 m0, 0x600, s46                                   // 000000003A0C: 807C2EFF 00000600
	buffer_load_dword v24, s[4:7], 0 offen lds                 // 000000003A14: E0511000 80010018
	v_mfma_f32_16x16x16_bf16 v[36:39], a[86:87], a[54:55], v[36:39]// 000000003A1C: D3E10024 1C926D56
	s_add_u32 m0, 0x700, s46                                   // 000000003A24: 807C2EFF 00000700
	buffer_load_dword v25, s[4:7], 0 offen lds                 // 000000003A2C: E0511000 80010019
	ds_read_b128 a[24:27], v28 offset:11904                    // 000000003A34: DBFE2E80 1800001C
	ds_read_b128 a[28:31], v28 offset:11968                    // 000000003A3C: DBFE2EC0 1C00001C
	v_mfma_f32_16x16x16_bf16 v[40:43], a[80:81], a[56:57], v[40:43]// 000000003A44: D3E10028 1CA27150
	s_add_u32 m0, 0x800, s46                                   // 000000003A4C: 807C2EFF 00000800
	buffer_load_dword v26, s[4:7], 0 offen lds                 // 000000003A54: E0511000 8001001A
	v_mfma_f32_16x16x16_bf16 v[40:43], a[82:83], a[58:59], v[40:43]// 000000003A5C: D3E10028 1CA27552
	s_add_u32 m0, 0x900, s46                                   // 000000003A64: 807C2EFF 00000900
	buffer_load_dword v27, s[4:7], 0 offen lds                 // 000000003A6C: E0511000 8001001B
	ds_read_b128 a[32:35], v28 offset:12416                    // 000000003A74: DBFE3080 2000001C
	ds_read_b128 a[36:39], v28 offset:12480                    // 000000003A7C: DBFE30C0 2400001C
	v_mfma_f32_16x16x16_bf16 v[40:43], a[84:85], a[60:61], v[40:43]// 000000003A84: D3E10028 1CA27954
	s_add_u32 s31, 0x100, s33                                  // 000000003A8C: 801F21FF 00000100
	s_cmp_lt_u32 s31, s34                                      // 000000003A94: BF0A221F
	s_cselect_b32 s44, s44, 0                                  // 000000003A98: 852C802C
	buffer_load_dwordx4 a[96:99], v29, s[8:11], 0 offen        // 000000003A9C: E05C1000 8082601D
	v_mfma_f32_16x16x16_bf16 v[40:43], a[86:87], a[62:63], v[40:43]// 000000003AA4: D3E10028 1CA27D56
	buffer_load_dwordx4 a[100:103], v30, s[8:11], 0 offen      // 000000003AAC: E05C1000 8082641E
	s_add_u32 s4, s44, s4                                      // 000000003AB4: 8004042C
	s_addc_u32 s5, 0, s5                                       // 000000003AB8: 82050580
	v_mfma_f32_16x16x16_bf16 v[44:47], a[80:81], a[64:65], v[44:47]// 000000003ABC: D3E1002C 1CB28150
	s_add_u32 s31, 0xc0, s33                                   // 000000003AC4: 801F21FF 000000C0
	s_cmp_lt_u32 s31, s34                                      // 000000003ACC: BF0A221F
	s_cselect_b32 s45, s45, 0                                  // 000000003AD0: 852D802D
	v_mfma_f32_16x16x16_bf16 v[44:47], a[82:83], a[66:67], v[44:47]// 000000003AD4: D3E1002C 1CB28552
	s_add_u32 s8, s45, s8                                      // 000000003ADC: 8008082D
	s_addc_u32 s9, 0, s9                                       // 000000003AE0: 82090980
	v_mfma_f32_16x16x16_bf16 v[44:47], a[84:85], a[68:69], v[44:47]// 000000003AE4: D3E1002C 1CB28954
	v_mfma_f32_16x16x16_bf16 v[44:47], a[86:87], a[70:71], v[44:47]// 000000003AEC: D3E1002C 1CB28D56
	v_mfma_f32_16x16x16_bf16 v[48:51], a[80:81], a[72:73], v[48:51]// 000000003AF4: D3E10030 1CC29150
	v_mfma_f32_16x16x16_bf16 v[48:51], a[82:83], a[74:75], v[48:51]// 000000003AFC: D3E10030 1CC29552
	v_mfma_f32_16x16x16_bf16 v[48:51], a[84:85], a[76:77], v[48:51]// 000000003B04: D3E10030 1CC29954
	v_mfma_f32_16x16x16_bf16 v[48:51], a[86:87], a[78:79], v[48:51]// 000000003B0C: D3E10030 1CC29D56
	s_addk_i32 s33, 0x40                                       // 000000003B14: B7210040
	s_cmp_lt_i32 s33, s34                                      // 000000003B18: BF042221
	s_cbranch_scc0 label_080A                                  // 000000003B1C: BF8403C2
	s_waitcnt vmcnt(12) lgkmcnt(0)                             // 000000003B20: BF8C007C
	s_barrier                                                  // 000000003B24: BF8A0000
	v_mfma_f32_16x16x16_bf16 v[32:35], a[88:89], a[0:1], v[32:35]// 000000003B28: D3E10020 1C820158
	s_add_u32 m0, 0, s47                                       // 000000003B30: 807C2F80
	buffer_load_dword v18, s[4:7], 0 offen lds                 // 000000003B34: E0511000 80010012
	v_mfma_f32_16x16x16_bf16 v[32:35], a[90:91], a[2:3], v[32:35]// 000000003B3C: D3E10020 1C82055A
	s_add_u32 m0, 0x100, s47                                   // 000000003B44: 807C2FFF 00000100
	buffer_load_dword v19, s[4:7], 0 offen lds                 // 000000003B4C: E0511000 80010013
	ds_read_b128 a[40:43], v28 offset:20736                    // 000000003B54: DBFE5100 2800001C
	ds_read_b128 a[44:47], v28 offset:20800                    // 000000003B5C: DBFE5140 2C00001C
	v_mfma_f32_16x16x16_bf16 v[32:35], a[92:93], a[4:5], v[32:35]// 000000003B64: D3E10020 1C82095C
	s_add_u32 m0, 0x200, s47                                   // 000000003B6C: 807C2FFF 00000200
	buffer_load_dword v20, s[4:7], 0 offen lds                 // 000000003B74: E0511000 80010014
	v_mfma_f32_16x16x16_bf16 v[32:35], a[94:95], a[6:7], v[32:35]// 000000003B7C: D3E10020 1C820D5E
	s_add_u32 m0, 0x300, s47                                   // 000000003B84: 807C2FFF 00000300
	buffer_load_dword v21, s[4:7], 0 offen lds                 // 000000003B8C: E0511000 80010015
	ds_read_b128 a[48:51], v28 offset:21248                    // 000000003B94: DBFE5300 3000001C
	ds_read_b128 a[52:55], v28 offset:21312                    // 000000003B9C: DBFE5340 3400001C
	v_mfma_f32_16x16x16_bf16 v[36:39], a[88:89], a[8:9], v[36:39]// 000000003BA4: D3E10024 1C921158
	s_add_u32 m0, 0x400, s47                                   // 000000003BAC: 807C2FFF 00000400
	buffer_load_dword v22, s[4:7], 0 offen lds                 // 000000003BB4: E0511000 80010016
	v_mfma_f32_16x16x16_bf16 v[36:39], a[90:91], a[10:11], v[36:39]// 000000003BBC: D3E10024 1C92155A
	s_add_u32 m0, 0x500, s47                                   // 000000003BC4: 807C2FFF 00000500
	buffer_load_dword v23, s[4:7], 0 offen lds                 // 000000003BCC: E0511000 80010017
	ds_read_b128 a[56:59], v28 offset:21760                    // 000000003BD4: DBFE5500 3800001C
	ds_read_b128 a[60:63], v28 offset:21824                    // 000000003BDC: DBFE5540 3C00001C
	v_mfma_f32_16x16x16_bf16 v[36:39], a[92:93], a[12:13], v[36:39]// 000000003BE4: D3E10024 1C92195C
	s_add_u32 m0, 0x600, s47                                   // 000000003BEC: 807C2FFF 00000600
	buffer_load_dword v24, s[4:7], 0 offen lds                 // 000000003BF4: E0511000 80010018
	v_mfma_f32_16x16x16_bf16 v[36:39], a[94:95], a[14:15], v[36:39]// 000000003BFC: D3E10024 1C921D5E
	s_add_u32 m0, 0x700, s47                                   // 000000003C04: 807C2FFF 00000700
	buffer_load_dword v25, s[4:7], 0 offen lds                 // 000000003C0C: E0511000 80010019
	ds_read_b128 a[64:67], v28 offset:22272                    // 000000003C14: DBFE5700 4000001C
	ds_read_b128 a[68:71], v28 offset:22336                    // 000000003C1C: DBFE5740 4400001C
	v_mfma_f32_16x16x16_bf16 v[40:43], a[88:89], a[16:17], v[40:43]// 000000003C24: D3E10028 1CA22158
	s_add_u32 m0, 0x800, s47                                   // 000000003C2C: 807C2FFF 00000800
	buffer_load_dword v26, s[4:7], 0 offen lds                 // 000000003C34: E0511000 8001001A
	v_mfma_f32_16x16x16_bf16 v[40:43], a[90:91], a[18:19], v[40:43]// 000000003C3C: D3E10028 1CA2255A
	s_add_u32 m0, 0x900, s47                                   // 000000003C44: 807C2FFF 00000900
	buffer_load_dword v27, s[4:7], 0 offen lds                 // 000000003C4C: E0511000 8001001B
	ds_read_b128 a[72:75], v28 offset:22784                    // 000000003C54: DBFE5900 4800001C
	ds_read_b128 a[76:79], v28 offset:22848                    // 000000003C5C: DBFE5940 4C00001C
	v_mfma_f32_16x16x16_bf16 v[40:43], a[92:93], a[20:21], v[40:43]// 000000003C64: D3E10028 1CA2295C
	s_add_u32 s31, 0x100, s33                                  // 000000003C6C: 801F21FF 00000100
	s_cmp_lt_u32 s31, s34                                      // 000000003C74: BF0A221F
	s_cselect_b32 s44, s44, 0                                  // 000000003C78: 852C802C
	buffer_load_dwordx4 a[80:83], v29, s[8:11], 0 offen        // 000000003C7C: E05C1000 8082501D
	v_mfma_f32_16x16x16_bf16 v[40:43], a[94:95], a[22:23], v[40:43]// 000000003C84: D3E10028 1CA22D5E
	buffer_load_dwordx4 a[84:87], v30, s[8:11], 0 offen        // 000000003C8C: E05C1000 8082541E
	s_add_u32 s4, s44, s4                                      // 000000003C94: 8004042C
	s_addc_u32 s5, 0, s5                                       // 000000003C98: 82050580
	v_mfma_f32_16x16x16_bf16 v[44:47], a[88:89], a[24:25], v[44:47]// 000000003C9C: D3E1002C 1CB23158
	s_add_u32 s31, 0xc0, s33                                   // 000000003CA4: 801F21FF 000000C0
	s_cmp_lt_u32 s31, s34                                      // 000000003CAC: BF0A221F
	s_cselect_b32 s45, s45, 0                                  // 000000003CB0: 852D802D
	v_mfma_f32_16x16x16_bf16 v[44:47], a[90:91], a[26:27], v[44:47]// 000000003CB4: D3E1002C 1CB2355A
	s_add_u32 s8, s45, s8                                      // 000000003CBC: 8008082D
	s_addc_u32 s9, 0, s9                                       // 000000003CC0: 82090980
	v_mfma_f32_16x16x16_bf16 v[44:47], a[92:93], a[28:29], v[44:47]// 000000003CC4: D3E1002C 1CB2395C
	v_mfma_f32_16x16x16_bf16 v[44:47], a[94:95], a[30:31], v[44:47]// 000000003CCC: D3E1002C 1CB23D5E
	v_mfma_f32_16x16x16_bf16 v[48:51], a[88:89], a[32:33], v[48:51]// 000000003CD4: D3E10030 1CC24158
	v_mfma_f32_16x16x16_bf16 v[48:51], a[90:91], a[34:35], v[48:51]// 000000003CDC: D3E10030 1CC2455A
	v_mfma_f32_16x16x16_bf16 v[48:51], a[92:93], a[36:37], v[48:51]// 000000003CE4: D3E10030 1CC2495C
	v_mfma_f32_16x16x16_bf16 v[48:51], a[94:95], a[38:39], v[48:51]// 000000003CEC: D3E10030 1CC24D5E
	s_addk_i32 s33, 0x40                                       // 000000003CF4: B7210040
	s_cmp_lt_i32 s33, s34                                      // 000000003CF8: BF042221
	s_cbranch_scc0 label_080A                                  // 000000003CFC: BF84034A
	s_waitcnt vmcnt(12) lgkmcnt(0)                             // 000000003D00: BF8C007C
	s_barrier                                                  // 000000003D04: BF8A0000
	v_mfma_f32_16x16x16_bf16 v[32:35], a[96:97], a[40:41], v[32:35]// 000000003D08: D3E10020 1C825160
	s_add_u32 m0, 0, s48                                       // 000000003D10: 807C3080
	buffer_load_dword v18, s[4:7], 0 offen lds                 // 000000003D14: E0511000 80010012
	v_mfma_f32_16x16x16_bf16 v[32:35], a[98:99], a[42:43], v[32:35]// 000000003D1C: D3E10020 1C825562
	s_add_u32 m0, 0x100, s48                                   // 000000003D24: 807C30FF 00000100
	buffer_load_dword v19, s[4:7], 0 offen lds                 // 000000003D2C: E0511000 80010013
	ds_read_b128 a[0:3], v28                                   // 000000003D34: DBFE0000 0000001C
	ds_read_b128 a[4:7], v28 offset:64                         // 000000003D3C: DBFE0040 0400001C
	v_mfma_f32_16x16x16_bf16 v[32:35], a[100:101], a[44:45], v[32:35]// 000000003D44: D3E10020 1C825964
	s_add_u32 m0, 0x200, s48                                   // 000000003D4C: 807C30FF 00000200
	buffer_load_dword v20, s[4:7], 0 offen lds                 // 000000003D54: E0511000 80010014
	v_mfma_f32_16x16x16_bf16 v[32:35], a[102:103], a[46:47], v[32:35]// 000000003D5C: D3E10020 1C825D66
	s_add_u32 m0, 0x300, s48                                   // 000000003D64: 807C30FF 00000300
	buffer_load_dword v21, s[4:7], 0 offen lds                 // 000000003D6C: E0511000 80010015
	ds_read_b128 a[8:11], v28 offset:512                       // 000000003D74: DBFE0200 0800001C
	ds_read_b128 a[12:15], v28 offset:576                      // 000000003D7C: DBFE0240 0C00001C
	v_mfma_f32_16x16x16_bf16 v[36:39], a[96:97], a[48:49], v[36:39]// 000000003D84: D3E10024 1C926160
	s_add_u32 m0, 0x400, s48                                   // 000000003D8C: 807C30FF 00000400
	buffer_load_dword v22, s[4:7], 0 offen lds                 // 000000003D94: E0511000 80010016
	v_mfma_f32_16x16x16_bf16 v[36:39], a[98:99], a[50:51], v[36:39]// 000000003D9C: D3E10024 1C926562
	s_add_u32 m0, 0x500, s48                                   // 000000003DA4: 807C30FF 00000500
	buffer_load_dword v23, s[4:7], 0 offen lds                 // 000000003DAC: E0511000 80010017
	ds_read_b128 a[16:19], v28 offset:1024                     // 000000003DB4: DBFE0400 1000001C
	ds_read_b128 a[20:23], v28 offset:1088                     // 000000003DBC: DBFE0440 1400001C
	v_mfma_f32_16x16x16_bf16 v[36:39], a[100:101], a[52:53], v[36:39]// 000000003DC4: D3E10024 1C926964
	s_add_u32 m0, 0x600, s48                                   // 000000003DCC: 807C30FF 00000600
	buffer_load_dword v24, s[4:7], 0 offen lds                 // 000000003DD4: E0511000 80010018
	v_mfma_f32_16x16x16_bf16 v[36:39], a[102:103], a[54:55], v[36:39]// 000000003DDC: D3E10024 1C926D66
	s_add_u32 m0, 0x700, s48                                   // 000000003DE4: 807C30FF 00000700
	buffer_load_dword v25, s[4:7], 0 offen lds                 // 000000003DEC: E0511000 80010019
	ds_read_b128 a[24:27], v28 offset:1536                     // 000000003DF4: DBFE0600 1800001C
	ds_read_b128 a[28:31], v28 offset:1600                     // 000000003DFC: DBFE0640 1C00001C
	v_mfma_f32_16x16x16_bf16 v[40:43], a[96:97], a[56:57], v[40:43]// 000000003E04: D3E10028 1CA27160
	s_add_u32 m0, 0x800, s48                                   // 000000003E0C: 807C30FF 00000800
	buffer_load_dword v26, s[4:7], 0 offen lds                 // 000000003E14: E0511000 8001001A
	v_mfma_f32_16x16x16_bf16 v[40:43], a[98:99], a[58:59], v[40:43]// 000000003E1C: D3E10028 1CA27562
	s_add_u32 m0, 0x900, s48                                   // 000000003E24: 807C30FF 00000900
	buffer_load_dword v27, s[4:7], 0 offen lds                 // 000000003E2C: E0511000 8001001B
	ds_read_b128 a[32:35], v28 offset:2048                     // 000000003E34: DBFE0800 2000001C
	ds_read_b128 a[36:39], v28 offset:2112                     // 000000003E3C: DBFE0840 2400001C
	v_mfma_f32_16x16x16_bf16 v[40:43], a[100:101], a[60:61], v[40:43]// 000000003E44: D3E10028 1CA27964
	s_add_u32 s31, 0x100, s33                                  // 000000003E4C: 801F21FF 00000100
	s_cmp_lt_u32 s31, s34                                      // 000000003E54: BF0A221F
	s_cselect_b32 s44, s44, 0                                  // 000000003E58: 852C802C
	buffer_load_dwordx4 a[88:91], v29, s[8:11], 0 offen        // 000000003E5C: E05C1000 8082581D
	v_mfma_f32_16x16x16_bf16 v[40:43], a[102:103], a[62:63], v[40:43]// 000000003E64: D3E10028 1CA27D66
	buffer_load_dwordx4 a[92:95], v30, s[8:11], 0 offen        // 000000003E6C: E05C1000 80825C1E
	s_add_u32 s4, s44, s4                                      // 000000003E74: 8004042C
	s_addc_u32 s5, 0, s5                                       // 000000003E78: 82050580
	v_mfma_f32_16x16x16_bf16 v[44:47], a[96:97], a[64:65], v[44:47]// 000000003E7C: D3E1002C 1CB28160
	s_add_u32 s31, 0xc0, s33                                   // 000000003E84: 801F21FF 000000C0
	s_cmp_lt_u32 s31, s34                                      // 000000003E8C: BF0A221F
	s_cselect_b32 s45, s45, 0                                  // 000000003E90: 852D802D
	v_mfma_f32_16x16x16_bf16 v[44:47], a[98:99], a[66:67], v[44:47]// 000000003E94: D3E1002C 1CB28562
	s_add_u32 s8, s45, s8                                      // 000000003E9C: 8008082D
	s_addc_u32 s9, 0, s9                                       // 000000003EA0: 82090980
	v_mfma_f32_16x16x16_bf16 v[44:47], a[100:101], a[68:69], v[44:47]// 000000003EA4: D3E1002C 1CB28964
	v_mfma_f32_16x16x16_bf16 v[44:47], a[102:103], a[70:71], v[44:47]// 000000003EAC: D3E1002C 1CB28D66
	v_mfma_f32_16x16x16_bf16 v[48:51], a[96:97], a[72:73], v[48:51]// 000000003EB4: D3E10030 1CC29160
	v_mfma_f32_16x16x16_bf16 v[48:51], a[98:99], a[74:75], v[48:51]// 000000003EBC: D3E10030 1CC29562
	v_mfma_f32_16x16x16_bf16 v[48:51], a[100:101], a[76:77], v[48:51]// 000000003EC4: D3E10030 1CC29964
	v_mfma_f32_16x16x16_bf16 v[48:51], a[102:103], a[78:79], v[48:51]// 000000003ECC: D3E10030 1CC29D66
	s_addk_i32 s33, 0x40                                       // 000000003ED4: B7210040
	s_cmp_lt_i32 s33, s34                                      // 000000003ED8: BF042221
	s_cbranch_scc0 label_080A                                  // 000000003EDC: BF8402D2
	s_branch label_0268                                        // 000000003EE0: BF82FD2F

0000000000003ee4 <label_0539>:
	s_waitcnt vmcnt(12) lgkmcnt(0)                             // 000000003EE4: BF8C007C
	s_barrier                                                  // 000000003EE8: BF8A0000
	v_mfma_f32_16x16x16_bf16 v[32:35], a[80:81], a[0:1], v[32:35]// 000000003EEC: D3E10020 1C820150
	s_add_u32 m0, 0, s46                                       // 000000003EF4: 807C2E80
	buffer_load_dword v18, s[4:7], 0 offen lds                 // 000000003EF8: E0511000 80010012
	ds_read_b128 a[40:43], v28 offset:10368                    // 000000003F00: DBFE2880 2800001C
	ds_read_b128 a[44:47], v28 offset:10432                    // 000000003F08: DBFE28C0 2C00001C
	v_mfma_f32_16x16x16_bf16 v[32:35], a[82:83], a[2:3], v[32:35]// 000000003F10: D3E10020 1C820552
	s_add_u32 m0, 0x100, s46                                   // 000000003F18: 807C2EFF 00000100
	buffer_load_dword v19, s[4:7], 0 offen lds                 // 000000003F20: E0511000 80010013
	v_mfma_f32_16x16x16_bf16 v[32:35], a[84:85], a[4:5], v[32:35]// 000000003F28: D3E10020 1C820954
	s_add_u32 m0, 0x200, s46                                   // 000000003F30: 807C2EFF 00000200
	buffer_load_dword v20, s[4:7], 0 offen lds                 // 000000003F38: E0511000 80010014
	ds_read_b128 a[48:51], v28 offset:10880                    // 000000003F40: DBFE2A80 3000001C
	ds_read_b128 a[52:55], v28 offset:10944                    // 000000003F48: DBFE2AC0 3400001C
	v_mfma_f32_16x16x16_bf16 v[32:35], a[86:87], a[6:7], v[32:35]// 000000003F50: D3E10020 1C820D56
	s_add_u32 m0, 0x300, s46                                   // 000000003F58: 807C2EFF 00000300
	buffer_load_dword v21, s[4:7], 0 offen lds                 // 000000003F60: E0511000 80010015
	v_mfma_f32_16x16x16_bf16 v[36:39], a[80:81], a[8:9], v[36:39]// 000000003F68: D3E10024 1C921150
	s_add_u32 m0, 0x400, s46                                   // 000000003F70: 807C2EFF 00000400
	buffer_load_dword v22, s[4:7], 0 offen lds                 // 000000003F78: E0511000 80010016
	ds_read_b128 a[56:59], v28 offset:11392                    // 000000003F80: DBFE2C80 3800001C
	ds_read_b128 a[60:63], v28 offset:11456                    // 000000003F88: DBFE2CC0 3C00001C
	v_mfma_f32_16x16x16_bf16 v[36:39], a[82:83], a[10:11], v[36:39]// 000000003F90: D3E10024 1C921552
	s_add_u32 m0, 0x500, s46                                   // 000000003F98: 807C2EFF 00000500
	buffer_load_dword v23, s[4:7], 0 offen lds                 // 000000003FA0: E0511000 80010017
	v_mfma_f32_16x16x16_bf16 v[36:39], a[84:85], a[12:13], v[36:39]// 000000003FA8: D3E10024 1C921954
	s_add_u32 m0, 0x600, s46                                   // 000000003FB0: 807C2EFF 00000600
	buffer_load_dword v24, s[4:7], 0 offen lds                 // 000000003FB8: E0511000 80010018
	ds_read_b128 a[64:67], v28 offset:11904                    // 000000003FC0: DBFE2E80 4000001C
	ds_read_b128 a[68:71], v28 offset:11968                    // 000000003FC8: DBFE2EC0 4400001C
	v_mfma_f32_16x16x16_bf16 v[36:39], a[86:87], a[14:15], v[36:39]// 000000003FD0: D3E10024 1C921D56
	s_add_u32 m0, 0x700, s46                                   // 000000003FD8: 807C2EFF 00000700
	buffer_load_dword v25, s[4:7], 0 offen lds                 // 000000003FE0: E0511000 80010019
	v_mfma_f32_16x16x16_bf16 v[40:43], a[80:81], a[16:17], v[40:43]// 000000003FE8: D3E10028 1CA22150
	s_add_u32 m0, 0x800, s46                                   // 000000003FF0: 807C2EFF 00000800
	buffer_load_dword v26, s[4:7], 0 offen lds                 // 000000003FF8: E0511000 8001001A
	ds_read_b128 a[72:75], v28 offset:12416                    // 000000004000: DBFE3080 4800001C
	ds_read_b128 a[76:79], v28 offset:12480                    // 000000004008: DBFE30C0 4C00001C
	v_mfma_f32_16x16x16_bf16 v[40:43], a[82:83], a[18:19], v[40:43]// 000000004010: D3E10028 1CA22552
	s_add_u32 m0, 0x900, s46                                   // 000000004018: 807C2EFF 00000900
	buffer_load_dword v27, s[4:7], 0 offen lds                 // 000000004020: E0511000 8001001B
	v_mfma_f32_16x16x16_bf16 v[40:43], a[84:85], a[20:21], v[40:43]// 000000004028: D3E10028 1CA22954
	s_add_u32 s31, 0x100, s33                                  // 000000004030: 801F21FF 00000100
	s_cmp_lt_u32 s31, s34                                      // 000000004038: BF0A221F
	s_cselect_b32 s44, s44, 0                                  // 00000000403C: 852C802C
	buffer_load_dwordx4 a[96:99], v29, s[8:11], 0 offen        // 000000004040: E05C1000 8082601D
	s_add_u32 s4, s44, s4                                      // 000000004048: 8004042C
	s_addc_u32 s5, 0, s5                                       // 00000000404C: 82050580
	v_mfma_f32_16x16x16_bf16 v[40:43], a[86:87], a[22:23], v[40:43]// 000000004050: D3E10028 1CA22D56
	buffer_load_dwordx4 a[100:103], v30, s[8:11], 0 offen      // 000000004058: E05C1000 8082641E
	v_mfma_f32_16x16x16_bf16 v[44:47], a[80:81], a[24:25], v[44:47]// 000000004060: D3E1002C 1CB23150
	s_add_u32 s31, 0xc0, s33                                   // 000000004068: 801F21FF 000000C0
	s_cmp_lt_u32 s31, s34                                      // 000000004070: BF0A221F
	s_cselect_b32 s45, s45, 0                                  // 000000004074: 852D802D
	s_add_u32 s8, s45, s8                                      // 000000004078: 8008082D
	s_addc_u32 s9, 0, s9                                       // 00000000407C: 82090980
	v_mfma_f32_16x16x16_bf16 v[44:47], a[82:83], a[26:27], v[44:47]// 000000004080: D3E1002C 1CB23552
	v_mfma_f32_16x16x16_bf16 v[44:47], a[84:85], a[28:29], v[44:47]// 000000004088: D3E1002C 1CB23954
	v_mfma_f32_16x16x16_bf16 v[44:47], a[86:87], a[30:31], v[44:47]// 000000004090: D3E1002C 1CB23D56
	v_mfma_f32_16x16x16_bf16 v[48:51], a[80:81], a[32:33], v[48:51]// 000000004098: D3E10030 1CC24150
	v_mfma_f32_16x16x16_bf16 v[48:51], a[82:83], a[34:35], v[48:51]// 0000000040A0: D3E10030 1CC24552
	v_mfma_f32_16x16x16_bf16 v[48:51], a[84:85], a[36:37], v[48:51]// 0000000040A8: D3E10030 1CC24954
	v_mfma_f32_16x16x16_bf16 v[48:51], a[86:87], a[38:39], v[48:51]// 0000000040B0: D3E10030 1CC24D56
	s_addk_i32 s33, 0x40                                       // 0000000040B8: B7210040
	s_cmp_lt_i32 s33, s34                                      // 0000000040BC: BF042221
	s_cbranch_scc0 label_080A                                  // 0000000040C0: BF840259
	s_waitcnt vmcnt(12) lgkmcnt(0)                             // 0000000040C4: BF8C007C
	s_barrier                                                  // 0000000040C8: BF8A0000
	v_mfma_f32_16x16x16_bf16 v[32:35], a[88:89], a[40:41], v[32:35]// 0000000040CC: D3E10020 1C825158
	s_add_u32 m0, 0, s47                                       // 0000000040D4: 807C2F80
	buffer_load_dword v18, s[4:7], 0 offen lds                 // 0000000040D8: E0511000 80010012
	ds_read_b128 a[0:3], v28 offset:20736                      // 0000000040E0: DBFE5100 0000001C
	ds_read_b128 a[4:7], v28 offset:20800                      // 0000000040E8: DBFE5140 0400001C
	v_mfma_f32_16x16x16_bf16 v[32:35], a[90:91], a[42:43], v[32:35]// 0000000040F0: D3E10020 1C82555A
	s_add_u32 m0, 0x100, s47                                   // 0000000040F8: 807C2FFF 00000100
	buffer_load_dword v19, s[4:7], 0 offen lds                 // 000000004100: E0511000 80010013
	v_mfma_f32_16x16x16_bf16 v[32:35], a[92:93], a[44:45], v[32:35]// 000000004108: D3E10020 1C82595C
	s_add_u32 m0, 0x200, s47                                   // 000000004110: 807C2FFF 00000200
	buffer_load_dword v20, s[4:7], 0 offen lds                 // 000000004118: E0511000 80010014
	ds_read_b128 a[8:11], v28 offset:21248                     // 000000004120: DBFE5300 0800001C
	ds_read_b128 a[12:15], v28 offset:21312                    // 000000004128: DBFE5340 0C00001C
	v_mfma_f32_16x16x16_bf16 v[32:35], a[94:95], a[46:47], v[32:35]// 000000004130: D3E10020 1C825D5E
	s_add_u32 m0, 0x300, s47                                   // 000000004138: 807C2FFF 00000300
	buffer_load_dword v21, s[4:7], 0 offen lds                 // 000000004140: E0511000 80010015
	v_mfma_f32_16x16x16_bf16 v[36:39], a[88:89], a[48:49], v[36:39]// 000000004148: D3E10024 1C926158
	s_add_u32 m0, 0x400, s47                                   // 000000004150: 807C2FFF 00000400
	buffer_load_dword v22, s[4:7], 0 offen lds                 // 000000004158: E0511000 80010016
	ds_read_b128 a[16:19], v28 offset:21760                    // 000000004160: DBFE5500 1000001C
	ds_read_b128 a[20:23], v28 offset:21824                    // 000000004168: DBFE5540 1400001C
	v_mfma_f32_16x16x16_bf16 v[36:39], a[90:91], a[50:51], v[36:39]// 000000004170: D3E10024 1C92655A
	s_add_u32 m0, 0x500, s47                                   // 000000004178: 807C2FFF 00000500
	buffer_load_dword v23, s[4:7], 0 offen lds                 // 000000004180: E0511000 80010017
	v_mfma_f32_16x16x16_bf16 v[36:39], a[92:93], a[52:53], v[36:39]// 000000004188: D3E10024 1C92695C
	s_add_u32 m0, 0x600, s47                                   // 000000004190: 807C2FFF 00000600
	buffer_load_dword v24, s[4:7], 0 offen lds                 // 000000004198: E0511000 80010018
	ds_read_b128 a[24:27], v28 offset:22272                    // 0000000041A0: DBFE5700 1800001C
	ds_read_b128 a[28:31], v28 offset:22336                    // 0000000041A8: DBFE5740 1C00001C
	v_mfma_f32_16x16x16_bf16 v[36:39], a[94:95], a[54:55], v[36:39]// 0000000041B0: D3E10024 1C926D5E
	s_add_u32 m0, 0x700, s47                                   // 0000000041B8: 807C2FFF 00000700
	buffer_load_dword v25, s[4:7], 0 offen lds                 // 0000000041C0: E0511000 80010019
	v_mfma_f32_16x16x16_bf16 v[40:43], a[88:89], a[56:57], v[40:43]// 0000000041C8: D3E10028 1CA27158
	s_add_u32 m0, 0x800, s47                                   // 0000000041D0: 807C2FFF 00000800
	buffer_load_dword v26, s[4:7], 0 offen lds                 // 0000000041D8: E0511000 8001001A
	ds_read_b128 a[32:35], v28 offset:22784                    // 0000000041E0: DBFE5900 2000001C
	ds_read_b128 a[36:39], v28 offset:22848                    // 0000000041E8: DBFE5940 2400001C
	v_mfma_f32_16x16x16_bf16 v[40:43], a[90:91], a[58:59], v[40:43]// 0000000041F0: D3E10028 1CA2755A
	s_add_u32 m0, 0x900, s47                                   // 0000000041F8: 807C2FFF 00000900
	buffer_load_dword v27, s[4:7], 0 offen lds                 // 000000004200: E0511000 8001001B
	v_mfma_f32_16x16x16_bf16 v[40:43], a[92:93], a[60:61], v[40:43]// 000000004208: D3E10028 1CA2795C
	s_add_u32 s31, 0x100, s33                                  // 000000004210: 801F21FF 00000100
	s_cmp_lt_u32 s31, s34                                      // 000000004218: BF0A221F
	s_cselect_b32 s44, s44, 0                                  // 00000000421C: 852C802C
	buffer_load_dwordx4 a[80:83], v29, s[8:11], 0 offen        // 000000004220: E05C1000 8082501D
	s_add_u32 s4, s44, s4                                      // 000000004228: 8004042C
	s_addc_u32 s5, 0, s5                                       // 00000000422C: 82050580
	v_mfma_f32_16x16x16_bf16 v[40:43], a[94:95], a[62:63], v[40:43]// 000000004230: D3E10028 1CA27D5E
	buffer_load_dwordx4 a[84:87], v30, s[8:11], 0 offen        // 000000004238: E05C1000 8082541E
	v_mfma_f32_16x16x16_bf16 v[44:47], a[88:89], a[64:65], v[44:47]// 000000004240: D3E1002C 1CB28158
	s_add_u32 s31, 0xc0, s33                                   // 000000004248: 801F21FF 000000C0
	s_cmp_lt_u32 s31, s34                                      // 000000004250: BF0A221F
	s_cselect_b32 s45, s45, 0                                  // 000000004254: 852D802D
	s_add_u32 s8, s45, s8                                      // 000000004258: 8008082D
	s_addc_u32 s9, 0, s9                                       // 00000000425C: 82090980
	v_mfma_f32_16x16x16_bf16 v[44:47], a[90:91], a[66:67], v[44:47]// 000000004260: D3E1002C 1CB2855A
	v_mfma_f32_16x16x16_bf16 v[44:47], a[92:93], a[68:69], v[44:47]// 000000004268: D3E1002C 1CB2895C
	v_mfma_f32_16x16x16_bf16 v[44:47], a[94:95], a[70:71], v[44:47]// 000000004270: D3E1002C 1CB28D5E
	v_mfma_f32_16x16x16_bf16 v[48:51], a[88:89], a[72:73], v[48:51]// 000000004278: D3E10030 1CC29158
	v_mfma_f32_16x16x16_bf16 v[48:51], a[90:91], a[74:75], v[48:51]// 000000004280: D3E10030 1CC2955A
	v_mfma_f32_16x16x16_bf16 v[48:51], a[92:93], a[76:77], v[48:51]// 000000004288: D3E10030 1CC2995C
	v_mfma_f32_16x16x16_bf16 v[48:51], a[94:95], a[78:79], v[48:51]// 000000004290: D3E10030 1CC29D5E
	s_addk_i32 s33, 0x40                                       // 000000004298: B7210040
	s_cmp_lt_i32 s33, s34                                      // 00000000429C: BF042221
	s_cbranch_scc0 label_080A                                  // 0000000042A0: BF8401E1
	s_waitcnt vmcnt(12) lgkmcnt(0)                             // 0000000042A4: BF8C007C
	s_barrier                                                  // 0000000042A8: BF8A0000
	v_mfma_f32_16x16x16_bf16 v[32:35], a[96:97], a[0:1], v[32:35]// 0000000042AC: D3E10020 1C820160
	s_add_u32 m0, 0, s48                                       // 0000000042B4: 807C3080
	buffer_load_dword v18, s[4:7], 0 offen lds                 // 0000000042B8: E0511000 80010012
	ds_read_b128 a[40:43], v28                                 // 0000000042C0: DBFE0000 2800001C
	ds_read_b128 a[44:47], v28 offset:64                       // 0000000042C8: DBFE0040 2C00001C
	v_mfma_f32_16x16x16_bf16 v[32:35], a[98:99], a[2:3], v[32:35]// 0000000042D0: D3E10020 1C820562
	s_add_u32 m0, 0x100, s48                                   // 0000000042D8: 807C30FF 00000100
	buffer_load_dword v19, s[4:7], 0 offen lds                 // 0000000042E0: E0511000 80010013
	v_mfma_f32_16x16x16_bf16 v[32:35], a[100:101], a[4:5], v[32:35]// 0000000042E8: D3E10020 1C820964
	s_add_u32 m0, 0x200, s48                                   // 0000000042F0: 807C30FF 00000200
	buffer_load_dword v20, s[4:7], 0 offen lds                 // 0000000042F8: E0511000 80010014
	ds_read_b128 a[48:51], v28 offset:512                      // 000000004300: DBFE0200 3000001C
	ds_read_b128 a[52:55], v28 offset:576                      // 000000004308: DBFE0240 3400001C
	v_mfma_f32_16x16x16_bf16 v[32:35], a[102:103], a[6:7], v[32:35]// 000000004310: D3E10020 1C820D66
	s_add_u32 m0, 0x300, s48                                   // 000000004318: 807C30FF 00000300
	buffer_load_dword v21, s[4:7], 0 offen lds                 // 000000004320: E0511000 80010015
	v_mfma_f32_16x16x16_bf16 v[36:39], a[96:97], a[8:9], v[36:39]// 000000004328: D3E10024 1C921160
	s_add_u32 m0, 0x400, s48                                   // 000000004330: 807C30FF 00000400
	buffer_load_dword v22, s[4:7], 0 offen lds                 // 000000004338: E0511000 80010016
	ds_read_b128 a[56:59], v28 offset:1024                     // 000000004340: DBFE0400 3800001C
	ds_read_b128 a[60:63], v28 offset:1088                     // 000000004348: DBFE0440 3C00001C
	v_mfma_f32_16x16x16_bf16 v[36:39], a[98:99], a[10:11], v[36:39]// 000000004350: D3E10024 1C921562
	s_add_u32 m0, 0x500, s48                                   // 000000004358: 807C30FF 00000500
	buffer_load_dword v23, s[4:7], 0 offen lds                 // 000000004360: E0511000 80010017
	v_mfma_f32_16x16x16_bf16 v[36:39], a[100:101], a[12:13], v[36:39]// 000000004368: D3E10024 1C921964
	s_add_u32 m0, 0x600, s48                                   // 000000004370: 807C30FF 00000600
	buffer_load_dword v24, s[4:7], 0 offen lds                 // 000000004378: E0511000 80010018
	ds_read_b128 a[64:67], v28 offset:1536                     // 000000004380: DBFE0600 4000001C
	ds_read_b128 a[68:71], v28 offset:1600                     // 000000004388: DBFE0640 4400001C
	v_mfma_f32_16x16x16_bf16 v[36:39], a[102:103], a[14:15], v[36:39]// 000000004390: D3E10024 1C921D66
	s_add_u32 m0, 0x700, s48                                   // 000000004398: 807C30FF 00000700
	buffer_load_dword v25, s[4:7], 0 offen lds                 // 0000000043A0: E0511000 80010019
	v_mfma_f32_16x16x16_bf16 v[40:43], a[96:97], a[16:17], v[40:43]// 0000000043A8: D3E10028 1CA22160
	s_add_u32 m0, 0x800, s48                                   // 0000000043B0: 807C30FF 00000800
	buffer_load_dword v26, s[4:7], 0 offen lds                 // 0000000043B8: E0511000 8001001A
	ds_read_b128 a[72:75], v28 offset:2048                     // 0000000043C0: DBFE0800 4800001C
	ds_read_b128 a[76:79], v28 offset:2112                     // 0000000043C8: DBFE0840 4C00001C
	v_mfma_f32_16x16x16_bf16 v[40:43], a[98:99], a[18:19], v[40:43]// 0000000043D0: D3E10028 1CA22562
	s_add_u32 m0, 0x900, s48                                   // 0000000043D8: 807C30FF 00000900
	buffer_load_dword v27, s[4:7], 0 offen lds                 // 0000000043E0: E0511000 8001001B
	v_mfma_f32_16x16x16_bf16 v[40:43], a[100:101], a[20:21], v[40:43]// 0000000043E8: D3E10028 1CA22964
	s_add_u32 s31, 0x100, s33                                  // 0000000043F0: 801F21FF 00000100
	s_cmp_lt_u32 s31, s34                                      // 0000000043F8: BF0A221F
	s_cselect_b32 s44, s44, 0                                  // 0000000043FC: 852C802C
	buffer_load_dwordx4 a[88:91], v29, s[8:11], 0 offen        // 000000004400: E05C1000 8082581D
	s_add_u32 s4, s44, s4                                      // 000000004408: 8004042C
	s_addc_u32 s5, 0, s5                                       // 00000000440C: 82050580
	v_mfma_f32_16x16x16_bf16 v[40:43], a[102:103], a[22:23], v[40:43]// 000000004410: D3E10028 1CA22D66
	buffer_load_dwordx4 a[92:95], v30, s[8:11], 0 offen        // 000000004418: E05C1000 80825C1E
	v_mfma_f32_16x16x16_bf16 v[44:47], a[96:97], a[24:25], v[44:47]// 000000004420: D3E1002C 1CB23160
	s_add_u32 s31, 0xc0, s33                                   // 000000004428: 801F21FF 000000C0
	s_cmp_lt_u32 s31, s34                                      // 000000004430: BF0A221F
	s_cselect_b32 s45, s45, 0                                  // 000000004434: 852D802D
	s_add_u32 s8, s45, s8                                      // 000000004438: 8008082D
	s_addc_u32 s9, 0, s9                                       // 00000000443C: 82090980
	v_mfma_f32_16x16x16_bf16 v[44:47], a[98:99], a[26:27], v[44:47]// 000000004440: D3E1002C 1CB23562
	v_mfma_f32_16x16x16_bf16 v[44:47], a[100:101], a[28:29], v[44:47]// 000000004448: D3E1002C 1CB23964
	v_mfma_f32_16x16x16_bf16 v[44:47], a[102:103], a[30:31], v[44:47]// 000000004450: D3E1002C 1CB23D66
	v_mfma_f32_16x16x16_bf16 v[48:51], a[96:97], a[32:33], v[48:51]// 000000004458: D3E10030 1CC24160
	v_mfma_f32_16x16x16_bf16 v[48:51], a[98:99], a[34:35], v[48:51]// 000000004460: D3E10030 1CC24562
	v_mfma_f32_16x16x16_bf16 v[48:51], a[100:101], a[36:37], v[48:51]// 000000004468: D3E10030 1CC24964
	v_mfma_f32_16x16x16_bf16 v[48:51], a[102:103], a[38:39], v[48:51]// 000000004470: D3E10030 1CC24D66
	s_addk_i32 s33, 0x40                                       // 000000004478: B7210040
	s_cmp_lt_i32 s33, s34                                      // 00000000447C: BF042221
	s_cbranch_scc0 label_080A                                  // 000000004480: BF840169
	s_waitcnt vmcnt(12) lgkmcnt(0)                             // 000000004484: BF8C007C
	s_barrier                                                  // 000000004488: BF8A0000
	v_mfma_f32_16x16x16_bf16 v[32:35], a[80:81], a[40:41], v[32:35]// 00000000448C: D3E10020 1C825150
	s_add_u32 m0, 0, s46                                       // 000000004494: 807C2E80
	buffer_load_dword v18, s[4:7], 0 offen lds                 // 000000004498: E0511000 80010012
	ds_read_b128 a[0:3], v28 offset:10368                      // 0000000044A0: DBFE2880 0000001C
	ds_read_b128 a[4:7], v28 offset:10432                      // 0000000044A8: DBFE28C0 0400001C
	v_mfma_f32_16x16x16_bf16 v[32:35], a[82:83], a[42:43], v[32:35]// 0000000044B0: D3E10020 1C825552
	s_add_u32 m0, 0x100, s46                                   // 0000000044B8: 807C2EFF 00000100
	buffer_load_dword v19, s[4:7], 0 offen lds                 // 0000000044C0: E0511000 80010013
	v_mfma_f32_16x16x16_bf16 v[32:35], a[84:85], a[44:45], v[32:35]// 0000000044C8: D3E10020 1C825954
	s_add_u32 m0, 0x200, s46                                   // 0000000044D0: 807C2EFF 00000200
	buffer_load_dword v20, s[4:7], 0 offen lds                 // 0000000044D8: E0511000 80010014
	ds_read_b128 a[8:11], v28 offset:10880                     // 0000000044E0: DBFE2A80 0800001C
	ds_read_b128 a[12:15], v28 offset:10944                    // 0000000044E8: DBFE2AC0 0C00001C
	v_mfma_f32_16x16x16_bf16 v[32:35], a[86:87], a[46:47], v[32:35]// 0000000044F0: D3E10020 1C825D56
	s_add_u32 m0, 0x300, s46                                   // 0000000044F8: 807C2EFF 00000300
	buffer_load_dword v21, s[4:7], 0 offen lds                 // 000000004500: E0511000 80010015
	v_mfma_f32_16x16x16_bf16 v[36:39], a[80:81], a[48:49], v[36:39]// 000000004508: D3E10024 1C926150
	s_add_u32 m0, 0x400, s46                                   // 000000004510: 807C2EFF 00000400
	buffer_load_dword v22, s[4:7], 0 offen lds                 // 000000004518: E0511000 80010016
	ds_read_b128 a[16:19], v28 offset:11392                    // 000000004520: DBFE2C80 1000001C
	ds_read_b128 a[20:23], v28 offset:11456                    // 000000004528: DBFE2CC0 1400001C
	v_mfma_f32_16x16x16_bf16 v[36:39], a[82:83], a[50:51], v[36:39]// 000000004530: D3E10024 1C926552
	s_add_u32 m0, 0x500, s46                                   // 000000004538: 807C2EFF 00000500
	buffer_load_dword v23, s[4:7], 0 offen lds                 // 000000004540: E0511000 80010017
	v_mfma_f32_16x16x16_bf16 v[36:39], a[84:85], a[52:53], v[36:39]// 000000004548: D3E10024 1C926954
	s_add_u32 m0, 0x600, s46                                   // 000000004550: 807C2EFF 00000600
	buffer_load_dword v24, s[4:7], 0 offen lds                 // 000000004558: E0511000 80010018
	ds_read_b128 a[24:27], v28 offset:11904                    // 000000004560: DBFE2E80 1800001C
	ds_read_b128 a[28:31], v28 offset:11968                    // 000000004568: DBFE2EC0 1C00001C
	v_mfma_f32_16x16x16_bf16 v[36:39], a[86:87], a[54:55], v[36:39]// 000000004570: D3E10024 1C926D56
	s_add_u32 m0, 0x700, s46                                   // 000000004578: 807C2EFF 00000700
	buffer_load_dword v25, s[4:7], 0 offen lds                 // 000000004580: E0511000 80010019
	v_mfma_f32_16x16x16_bf16 v[40:43], a[80:81], a[56:57], v[40:43]// 000000004588: D3E10028 1CA27150
	s_add_u32 m0, 0x800, s46                                   // 000000004590: 807C2EFF 00000800
	buffer_load_dword v26, s[4:7], 0 offen lds                 // 000000004598: E0511000 8001001A
	ds_read_b128 a[32:35], v28 offset:12416                    // 0000000045A0: DBFE3080 2000001C
	ds_read_b128 a[36:39], v28 offset:12480                    // 0000000045A8: DBFE30C0 2400001C
	v_mfma_f32_16x16x16_bf16 v[40:43], a[82:83], a[58:59], v[40:43]// 0000000045B0: D3E10028 1CA27552
	s_add_u32 m0, 0x900, s46                                   // 0000000045B8: 807C2EFF 00000900
	buffer_load_dword v27, s[4:7], 0 offen lds                 // 0000000045C0: E0511000 8001001B
	v_mfma_f32_16x16x16_bf16 v[40:43], a[84:85], a[60:61], v[40:43]// 0000000045C8: D3E10028 1CA27954
	s_add_u32 s31, 0x100, s33                                  // 0000000045D0: 801F21FF 00000100
	s_cmp_lt_u32 s31, s34                                      // 0000000045D8: BF0A221F
	s_cselect_b32 s44, s44, 0                                  // 0000000045DC: 852C802C
	buffer_load_dwordx4 a[96:99], v29, s[8:11], 0 offen        // 0000000045E0: E05C1000 8082601D
	s_add_u32 s4, s44, s4                                      // 0000000045E8: 8004042C
	s_addc_u32 s5, 0, s5                                       // 0000000045EC: 82050580
	v_mfma_f32_16x16x16_bf16 v[40:43], a[86:87], a[62:63], v[40:43]// 0000000045F0: D3E10028 1CA27D56
	buffer_load_dwordx4 a[100:103], v30, s[8:11], 0 offen      // 0000000045F8: E05C1000 8082641E
	v_mfma_f32_16x16x16_bf16 v[44:47], a[80:81], a[64:65], v[44:47]// 000000004600: D3E1002C 1CB28150
	s_add_u32 s31, 0xc0, s33                                   // 000000004608: 801F21FF 000000C0
	s_cmp_lt_u32 s31, s34                                      // 000000004610: BF0A221F
	s_cselect_b32 s45, s45, 0                                  // 000000004614: 852D802D
	s_add_u32 s8, s45, s8                                      // 000000004618: 8008082D
	s_addc_u32 s9, 0, s9                                       // 00000000461C: 82090980
	v_mfma_f32_16x16x16_bf16 v[44:47], a[82:83], a[66:67], v[44:47]// 000000004620: D3E1002C 1CB28552
	v_mfma_f32_16x16x16_bf16 v[44:47], a[84:85], a[68:69], v[44:47]// 000000004628: D3E1002C 1CB28954
	v_mfma_f32_16x16x16_bf16 v[44:47], a[86:87], a[70:71], v[44:47]// 000000004630: D3E1002C 1CB28D56
	v_mfma_f32_16x16x16_bf16 v[48:51], a[80:81], a[72:73], v[48:51]// 000000004638: D3E10030 1CC29150
	v_mfma_f32_16x16x16_bf16 v[48:51], a[82:83], a[74:75], v[48:51]// 000000004640: D3E10030 1CC29552
	v_mfma_f32_16x16x16_bf16 v[48:51], a[84:85], a[76:77], v[48:51]// 000000004648: D3E10030 1CC29954
	v_mfma_f32_16x16x16_bf16 v[48:51], a[86:87], a[78:79], v[48:51]// 000000004650: D3E10030 1CC29D56
	s_addk_i32 s33, 0x40                                       // 000000004658: B7210040
	s_cmp_lt_i32 s33, s34                                      // 00000000465C: BF042221
	s_cbranch_scc0 label_080A                                  // 000000004660: BF8400F1
	s_waitcnt vmcnt(12) lgkmcnt(0)                             // 000000004664: BF8C007C
	s_barrier                                                  // 000000004668: BF8A0000
	v_mfma_f32_16x16x16_bf16 v[32:35], a[88:89], a[0:1], v[32:35]// 00000000466C: D3E10020 1C820158
	s_add_u32 m0, 0, s47                                       // 000000004674: 807C2F80
	buffer_load_dword v18, s[4:7], 0 offen lds                 // 000000004678: E0511000 80010012
	ds_read_b128 a[40:43], v28 offset:20736                    // 000000004680: DBFE5100 2800001C
	ds_read_b128 a[44:47], v28 offset:20800                    // 000000004688: DBFE5140 2C00001C
	v_mfma_f32_16x16x16_bf16 v[32:35], a[90:91], a[2:3], v[32:35]// 000000004690: D3E10020 1C82055A
	s_add_u32 m0, 0x100, s47                                   // 000000004698: 807C2FFF 00000100
	buffer_load_dword v19, s[4:7], 0 offen lds                 // 0000000046A0: E0511000 80010013
	v_mfma_f32_16x16x16_bf16 v[32:35], a[92:93], a[4:5], v[32:35]// 0000000046A8: D3E10020 1C82095C
	s_add_u32 m0, 0x200, s47                                   // 0000000046B0: 807C2FFF 00000200
	buffer_load_dword v20, s[4:7], 0 offen lds                 // 0000000046B8: E0511000 80010014
	ds_read_b128 a[48:51], v28 offset:21248                    // 0000000046C0: DBFE5300 3000001C
	ds_read_b128 a[52:55], v28 offset:21312                    // 0000000046C8: DBFE5340 3400001C
	v_mfma_f32_16x16x16_bf16 v[32:35], a[94:95], a[6:7], v[32:35]// 0000000046D0: D3E10020 1C820D5E
	s_add_u32 m0, 0x300, s47                                   // 0000000046D8: 807C2FFF 00000300
	buffer_load_dword v21, s[4:7], 0 offen lds                 // 0000000046E0: E0511000 80010015
	v_mfma_f32_16x16x16_bf16 v[36:39], a[88:89], a[8:9], v[36:39]// 0000000046E8: D3E10024 1C921158
	s_add_u32 m0, 0x400, s47                                   // 0000000046F0: 807C2FFF 00000400
	buffer_load_dword v22, s[4:7], 0 offen lds                 // 0000000046F8: E0511000 80010016
	ds_read_b128 a[56:59], v28 offset:21760                    // 000000004700: DBFE5500 3800001C
	ds_read_b128 a[60:63], v28 offset:21824                    // 000000004708: DBFE5540 3C00001C
	v_mfma_f32_16x16x16_bf16 v[36:39], a[90:91], a[10:11], v[36:39]// 000000004710: D3E10024 1C92155A
	s_add_u32 m0, 0x500, s47                                   // 000000004718: 807C2FFF 00000500
	buffer_load_dword v23, s[4:7], 0 offen lds                 // 000000004720: E0511000 80010017
	v_mfma_f32_16x16x16_bf16 v[36:39], a[92:93], a[12:13], v[36:39]// 000000004728: D3E10024 1C92195C
	s_add_u32 m0, 0x600, s47                                   // 000000004730: 807C2FFF 00000600
	buffer_load_dword v24, s[4:7], 0 offen lds                 // 000000004738: E0511000 80010018
	ds_read_b128 a[64:67], v28 offset:22272                    // 000000004740: DBFE5700 4000001C
	ds_read_b128 a[68:71], v28 offset:22336                    // 000000004748: DBFE5740 4400001C
	v_mfma_f32_16x16x16_bf16 v[36:39], a[94:95], a[14:15], v[36:39]// 000000004750: D3E10024 1C921D5E
	s_add_u32 m0, 0x700, s47                                   // 000000004758: 807C2FFF 00000700
	buffer_load_dword v25, s[4:7], 0 offen lds                 // 000000004760: E0511000 80010019
	v_mfma_f32_16x16x16_bf16 v[40:43], a[88:89], a[16:17], v[40:43]// 000000004768: D3E10028 1CA22158
	s_add_u32 m0, 0x800, s47                                   // 000000004770: 807C2FFF 00000800
	buffer_load_dword v26, s[4:7], 0 offen lds                 // 000000004778: E0511000 8001001A
	ds_read_b128 a[72:75], v28 offset:22784                    // 000000004780: DBFE5900 4800001C
	ds_read_b128 a[76:79], v28 offset:22848                    // 000000004788: DBFE5940 4C00001C
	v_mfma_f32_16x16x16_bf16 v[40:43], a[90:91], a[18:19], v[40:43]// 000000004790: D3E10028 1CA2255A
	s_add_u32 m0, 0x900, s47                                   // 000000004798: 807C2FFF 00000900
	buffer_load_dword v27, s[4:7], 0 offen lds                 // 0000000047A0: E0511000 8001001B
	v_mfma_f32_16x16x16_bf16 v[40:43], a[92:93], a[20:21], v[40:43]// 0000000047A8: D3E10028 1CA2295C
	s_add_u32 s31, 0x100, s33                                  // 0000000047B0: 801F21FF 00000100
	s_cmp_lt_u32 s31, s34                                      // 0000000047B8: BF0A221F
	s_cselect_b32 s44, s44, 0                                  // 0000000047BC: 852C802C
	buffer_load_dwordx4 a[80:83], v29, s[8:11], 0 offen        // 0000000047C0: E05C1000 8082501D
	s_add_u32 s4, s44, s4                                      // 0000000047C8: 8004042C
	s_addc_u32 s5, 0, s5                                       // 0000000047CC: 82050580
	v_mfma_f32_16x16x16_bf16 v[40:43], a[94:95], a[22:23], v[40:43]// 0000000047D0: D3E10028 1CA22D5E
	buffer_load_dwordx4 a[84:87], v30, s[8:11], 0 offen        // 0000000047D8: E05C1000 8082541E
	v_mfma_f32_16x16x16_bf16 v[44:47], a[88:89], a[24:25], v[44:47]// 0000000047E0: D3E1002C 1CB23158
	s_add_u32 s31, 0xc0, s33                                   // 0000000047E8: 801F21FF 000000C0
	s_cmp_lt_u32 s31, s34                                      // 0000000047F0: BF0A221F
	s_cselect_b32 s45, s45, 0                                  // 0000000047F4: 852D802D
	s_add_u32 s8, s45, s8                                      // 0000000047F8: 8008082D
	s_addc_u32 s9, 0, s9                                       // 0000000047FC: 82090980
	v_mfma_f32_16x16x16_bf16 v[44:47], a[90:91], a[26:27], v[44:47]// 000000004800: D3E1002C 1CB2355A
	v_mfma_f32_16x16x16_bf16 v[44:47], a[92:93], a[28:29], v[44:47]// 000000004808: D3E1002C 1CB2395C
	v_mfma_f32_16x16x16_bf16 v[44:47], a[94:95], a[30:31], v[44:47]// 000000004810: D3E1002C 1CB23D5E
	v_mfma_f32_16x16x16_bf16 v[48:51], a[88:89], a[32:33], v[48:51]// 000000004818: D3E10030 1CC24158
	v_mfma_f32_16x16x16_bf16 v[48:51], a[90:91], a[34:35], v[48:51]// 000000004820: D3E10030 1CC2455A
	v_mfma_f32_16x16x16_bf16 v[48:51], a[92:93], a[36:37], v[48:51]// 000000004828: D3E10030 1CC2495C
	v_mfma_f32_16x16x16_bf16 v[48:51], a[94:95], a[38:39], v[48:51]// 000000004830: D3E10030 1CC24D5E
	s_addk_i32 s33, 0x40                                       // 000000004838: B7210040
	s_cmp_lt_i32 s33, s34                                      // 00000000483C: BF042221
	s_cbranch_scc0 label_080A                                  // 000000004840: BF840079
	s_waitcnt vmcnt(12) lgkmcnt(0)                             // 000000004844: BF8C007C
	s_barrier                                                  // 000000004848: BF8A0000
	v_mfma_f32_16x16x16_bf16 v[32:35], a[96:97], a[40:41], v[32:35]// 00000000484C: D3E10020 1C825160
	s_add_u32 m0, 0, s48                                       // 000000004854: 807C3080
	buffer_load_dword v18, s[4:7], 0 offen lds                 // 000000004858: E0511000 80010012
	ds_read_b128 a[0:3], v28                                   // 000000004860: DBFE0000 0000001C
	ds_read_b128 a[4:7], v28 offset:64                         // 000000004868: DBFE0040 0400001C
	v_mfma_f32_16x16x16_bf16 v[32:35], a[98:99], a[42:43], v[32:35]// 000000004870: D3E10020 1C825562
	s_add_u32 m0, 0x100, s48                                   // 000000004878: 807C30FF 00000100
	buffer_load_dword v19, s[4:7], 0 offen lds                 // 000000004880: E0511000 80010013
	v_mfma_f32_16x16x16_bf16 v[32:35], a[100:101], a[44:45], v[32:35]// 000000004888: D3E10020 1C825964
	s_add_u32 m0, 0x200, s48                                   // 000000004890: 807C30FF 00000200
	buffer_load_dword v20, s[4:7], 0 offen lds                 // 000000004898: E0511000 80010014
	ds_read_b128 a[8:11], v28 offset:512                       // 0000000048A0: DBFE0200 0800001C
	ds_read_b128 a[12:15], v28 offset:576                      // 0000000048A8: DBFE0240 0C00001C
	v_mfma_f32_16x16x16_bf16 v[32:35], a[102:103], a[46:47], v[32:35]// 0000000048B0: D3E10020 1C825D66
	s_add_u32 m0, 0x300, s48                                   // 0000000048B8: 807C30FF 00000300
	buffer_load_dword v21, s[4:7], 0 offen lds                 // 0000000048C0: E0511000 80010015
	v_mfma_f32_16x16x16_bf16 v[36:39], a[96:97], a[48:49], v[36:39]// 0000000048C8: D3E10024 1C926160
	s_add_u32 m0, 0x400, s48                                   // 0000000048D0: 807C30FF 00000400
	buffer_load_dword v22, s[4:7], 0 offen lds                 // 0000000048D8: E0511000 80010016
	ds_read_b128 a[16:19], v28 offset:1024                     // 0000000048E0: DBFE0400 1000001C
	ds_read_b128 a[20:23], v28 offset:1088                     // 0000000048E8: DBFE0440 1400001C
	v_mfma_f32_16x16x16_bf16 v[36:39], a[98:99], a[50:51], v[36:39]// 0000000048F0: D3E10024 1C926562
	s_add_u32 m0, 0x500, s48                                   // 0000000048F8: 807C30FF 00000500
	buffer_load_dword v23, s[4:7], 0 offen lds                 // 000000004900: E0511000 80010017
	v_mfma_f32_16x16x16_bf16 v[36:39], a[100:101], a[52:53], v[36:39]// 000000004908: D3E10024 1C926964
	s_add_u32 m0, 0x600, s48                                   // 000000004910: 807C30FF 00000600
	buffer_load_dword v24, s[4:7], 0 offen lds                 // 000000004918: E0511000 80010018
	ds_read_b128 a[24:27], v28 offset:1536                     // 000000004920: DBFE0600 1800001C
	ds_read_b128 a[28:31], v28 offset:1600                     // 000000004928: DBFE0640 1C00001C
	v_mfma_f32_16x16x16_bf16 v[36:39], a[102:103], a[54:55], v[36:39]// 000000004930: D3E10024 1C926D66
	s_add_u32 m0, 0x700, s48                                   // 000000004938: 807C30FF 00000700
	buffer_load_dword v25, s[4:7], 0 offen lds                 // 000000004940: E0511000 80010019
	v_mfma_f32_16x16x16_bf16 v[40:43], a[96:97], a[56:57], v[40:43]// 000000004948: D3E10028 1CA27160
	s_add_u32 m0, 0x800, s48                                   // 000000004950: 807C30FF 00000800
	buffer_load_dword v26, s[4:7], 0 offen lds                 // 000000004958: E0511000 8001001A
	ds_read_b128 a[32:35], v28 offset:2048                     // 000000004960: DBFE0800 2000001C
	ds_read_b128 a[36:39], v28 offset:2112                     // 000000004968: DBFE0840 2400001C
	v_mfma_f32_16x16x16_bf16 v[40:43], a[98:99], a[58:59], v[40:43]// 000000004970: D3E10028 1CA27562
	s_add_u32 m0, 0x900, s48                                   // 000000004978: 807C30FF 00000900
	buffer_load_dword v27, s[4:7], 0 offen lds                 // 000000004980: E0511000 8001001B
	v_mfma_f32_16x16x16_bf16 v[40:43], a[100:101], a[60:61], v[40:43]// 000000004988: D3E10028 1CA27964
	s_add_u32 s31, 0x100, s33                                  // 000000004990: 801F21FF 00000100
	s_cmp_lt_u32 s31, s34                                      // 000000004998: BF0A221F
	s_cselect_b32 s44, s44, 0                                  // 00000000499C: 852C802C
	buffer_load_dwordx4 a[88:91], v29, s[8:11], 0 offen        // 0000000049A0: E05C1000 8082581D
	s_add_u32 s4, s44, s4                                      // 0000000049A8: 8004042C
	s_addc_u32 s5, 0, s5                                       // 0000000049AC: 82050580
	v_mfma_f32_16x16x16_bf16 v[40:43], a[102:103], a[62:63], v[40:43]// 0000000049B0: D3E10028 1CA27D66
	buffer_load_dwordx4 a[92:95], v30, s[8:11], 0 offen        // 0000000049B8: E05C1000 80825C1E
	v_mfma_f32_16x16x16_bf16 v[44:47], a[96:97], a[64:65], v[44:47]// 0000000049C0: D3E1002C 1CB28160
	s_add_u32 s31, 0xc0, s33                                   // 0000000049C8: 801F21FF 000000C0
	s_cmp_lt_u32 s31, s34                                      // 0000000049D0: BF0A221F
	s_cselect_b32 s45, s45, 0                                  // 0000000049D4: 852D802D
	s_add_u32 s8, s45, s8                                      // 0000000049D8: 8008082D
	s_addc_u32 s9, 0, s9                                       // 0000000049DC: 82090980
	v_mfma_f32_16x16x16_bf16 v[44:47], a[98:99], a[66:67], v[44:47]// 0000000049E0: D3E1002C 1CB28562
	v_mfma_f32_16x16x16_bf16 v[44:47], a[100:101], a[68:69], v[44:47]// 0000000049E8: D3E1002C 1CB28964
	v_mfma_f32_16x16x16_bf16 v[44:47], a[102:103], a[70:71], v[44:47]// 0000000049F0: D3E1002C 1CB28D66
	v_mfma_f32_16x16x16_bf16 v[48:51], a[96:97], a[72:73], v[48:51]// 0000000049F8: D3E10030 1CC29160
	v_mfma_f32_16x16x16_bf16 v[48:51], a[98:99], a[74:75], v[48:51]// 000000004A00: D3E10030 1CC29562
	v_mfma_f32_16x16x16_bf16 v[48:51], a[100:101], a[76:77], v[48:51]// 000000004A08: D3E10030 1CC29964
	v_mfma_f32_16x16x16_bf16 v[48:51], a[102:103], a[78:79], v[48:51]// 000000004A10: D3E10030 1CC29D66
	s_addk_i32 s33, 0x40                                       // 000000004A18: B7210040
	s_cmp_lt_i32 s33, s34                                      // 000000004A1C: BF042221
	s_cbranch_scc0 label_080A                                  // 000000004A20: BF840001
	s_branch label_0539                                        // 000000004A24: BF82FD2F

0000000000004a28 <label_080A>:
	s_cmp_le_u32 s52, 1                                        // 000000004A28: BF0B8134
	s_cbranch_scc1 label_0C5C                                  // 000000004A2C: BF850450
	s_mov_b32 s31, 0x50                                        // 000000004A30: BE9F00FF 00000050
	s_cmp_lt_u32 s55, s31                                      // 000000004A38: BF0A1F37
	s_cbranch_scc1 label_09BD                                  // 000000004A3C: BF8501AD
	v_mov_b32_e32 v5, 0                                        // 000000004A40: 7E0A0280
	s_and_b32 s17, s17, 0xffff                                 // 000000004A44: 8611FF11 0000FFFF
	s_cmp_lt_u32 s54, 1                                        // 000000004A4C: BF0A8136
	s_cbranch_scc0 label_08C0                                  // 000000004A50: BF8400AB
	v_lshrrev_b32_e32 v4, 4, v0                                // 000000004A54: 20080084
	v_mul_u32_u24_e32 v28, 0x44, v4                            // 000000004A58: 103808FF 00000044
	v_and_b32_e32 v4, 15, v0                                   // 000000004A60: 2608008F
	v_mul_lo_u32 v5, 4, v4                                     // 000000004A64: D2850005 00020884
	v_add_u32_e32 v28, v5, v28                                 // 000000004A6C: 68383905
	s_mul_i32 s31, s24, 0x110                                  // 000000004A70: 921FFF18 00000110
	v_add_u32_e32 v28, s31, v28                                // 000000004A78: 6838381F
	v_lshlrev_b32_e32 v28, 2, v28                              // 000000004A7C: 24383882
	v_lshrrev_b32_e32 v4, 2, v0                                // 000000004A80: 20080082
	v_mul_u32_u24_e32 v31, 0x44, v4                            // 000000004A84: 103E08FF 00000044
	v_and_b32_e32 v4, 3, v0                                    // 000000004A8C: 26080083
	v_add_u32_e32 v31, v4, v31                                 // 000000004A90: 683E3F04
	s_mul_i32 s31, s24, 4                                      // 000000004A94: 921F8418
	v_add_u32_e32 v31, s31, v31                                // 000000004A98: 683E3E1F
	v_lshlrev_b32_e32 v31, 2, v31                              // 000000004A9C: 243E3E82
	s_waitcnt vmcnt(0) expcnt(0) lgkmcnt(0)                    // 000000004AA0: BF8C0000
	s_barrier                                                  // 000000004AA4: BF8A0000
	ds_write_b128 v28, v[32:35]                                // 000000004AA8: D9BE0000 0000201C
	ds_write_b128 v28, v[36:39] offset:4352                    // 000000004AB0: D9BE1100 0000241C
	ds_write_b128 v28, v[40:43] offset:8704                    // 000000004AB8: D9BE2200 0000281C
	ds_write_b128 v28, v[44:47] offset:13056                   // 000000004AC0: D9BE3300 00002C1C
	ds_write_b128 v28, v[48:51] offset:17408                   // 000000004AC8: D9BE4400 0000301C
	s_waitcnt lgkmcnt(0)                                       // 000000004AD0: BF8CC07F
	s_barrier                                                  // 000000004AD4: BF8A0000
	ds_read_b32 v32, v31                                       // 000000004AD8: D86C0000 2000001F
	ds_read_b32 v33, v31 offset:64                             // 000000004AE0: D86C0040 2100001F
	ds_read_b32 v34, v31 offset:128                            // 000000004AE8: D86C0080 2200001F
	ds_read_b32 v35, v31 offset:192                            // 000000004AF0: D86C00C0 2300001F
	ds_read_b32 v36, v31 offset:4352                           // 000000004AF8: D86C1100 2400001F
	ds_read_b32 v37, v31 offset:4416                           // 000000004B00: D86C1140 2500001F
	ds_read_b32 v38, v31 offset:4480                           // 000000004B08: D86C1180 2600001F
	ds_read_b32 v39, v31 offset:4544                           // 000000004B10: D86C11C0 2700001F
	ds_read_b32 v40, v31 offset:8704                           // 000000004B18: D86C2200 2800001F
	ds_read_b32 v41, v31 offset:8768                           // 000000004B20: D86C2240 2900001F
	ds_read_b32 v42, v31 offset:8832                           // 000000004B28: D86C2280 2A00001F
	ds_read_b32 v43, v31 offset:8896                           // 000000004B30: D86C22C0 2B00001F
	ds_read_b32 v44, v31 offset:13056                          // 000000004B38: D86C3300 2C00001F
	ds_read_b32 v45, v31 offset:13120                          // 000000004B40: D86C3340 2D00001F
	ds_read_b32 v46, v31 offset:13184                          // 000000004B48: D86C3380 2E00001F
	ds_read_b32 v47, v31 offset:13248                          // 000000004B50: D86C33C0 2F00001F
	ds_read_b32 v48, v31 offset:17408                          // 000000004B58: D86C4400 3000001F
	ds_read_b32 v49, v31 offset:17472                          // 000000004B60: D86C4440 3100001F
	ds_read_b32 v50, v31 offset:17536                          // 000000004B68: D86C4480 3200001F
	ds_read_b32 v51, v31 offset:17600                          // 000000004B70: D86C44C0 3300001F
	s_waitcnt lgkmcnt(0)                                       // 000000004B78: BF8CC07F
	s_cmp_eq_u32 s24, 0                                        // 000000004B7C: BF068018
	s_cbranch_scc0 label_0867                                  // 000000004B80: BF840006
	s_mov_b32 s31, 0                                           // 000000004B84: BE9F0080

0000000000004b88 <label_0862>:
	s_load_dword s32, s[40:41], s62 glc                        // 000000004B88: C0010814 0000003E
	s_waitcnt lgkmcnt(0)                                       // 000000004B90: BF8CC07F
	s_cmp_gt_u32 s32, s31                                      // 000000004B94: BF081F20
	s_cbranch_scc0 label_0862                                  // 000000004B98: BF84FFFB

0000000000004b9c <label_0867>:
	s_barrier                                                  // 000000004B9C: BF8A0000
	s_mul_i32 s31, s30, 4                                      // 000000004BA0: 921F841E
	v_mov_b32_e32 v4, v17                                      // 000000004BA4: 7E080311
	global_atomic_add_f32 v4, v32, s[16:17]                    // 000000004BA8: DD348000 00102004
	v_add_u32_e64 v4, v4, s31                                  // 000000004BB0: D1340004 00003F04
	global_atomic_add_f32 v4, v33, s[16:17]                    // 000000004BB8: DD348000 00102104
	v_add_u32_e64 v4, v4, s31                                  // 000000004BC0: D1340004 00003F04
	global_atomic_add_f32 v4, v34, s[16:17]                    // 000000004BC8: DD348000 00102204
	v_add_u32_e64 v4, v4, s31                                  // 000000004BD0: D1340004 00003F04
	global_atomic_add_f32 v4, v35, s[16:17]                    // 000000004BD8: DD348000 00102304
	v_add_u32_e64 v4, v4, s31                                  // 000000004BE0: D1340004 00003F04
	global_atomic_add_f32 v4, v36, s[16:17]                    // 000000004BE8: DD348000 00102404
	v_add_u32_e64 v4, v4, s31                                  // 000000004BF0: D1340004 00003F04
	global_atomic_add_f32 v4, v37, s[16:17]                    // 000000004BF8: DD348000 00102504
	v_add_u32_e64 v4, v4, s31                                  // 000000004C00: D1340004 00003F04
	global_atomic_add_f32 v4, v38, s[16:17]                    // 000000004C08: DD348000 00102604
	v_add_u32_e64 v4, v4, s31                                  // 000000004C10: D1340004 00003F04
	global_atomic_add_f32 v4, v39, s[16:17]                    // 000000004C18: DD348000 00102704
	v_add_u32_e64 v4, v4, s31                                  // 000000004C20: D1340004 00003F04
	global_atomic_add_f32 v4, v40, s[16:17]                    // 000000004C28: DD348000 00102804
	v_add_u32_e64 v4, v4, s31                                  // 000000004C30: D1340004 00003F04
	global_atomic_add_f32 v4, v41, s[16:17]                    // 000000004C38: DD348000 00102904
	v_add_u32_e64 v4, v4, s31                                  // 000000004C40: D1340004 00003F04
	global_atomic_add_f32 v4, v42, s[16:17]                    // 000000004C48: DD348000 00102A04
	v_add_u32_e64 v4, v4, s31                                  // 000000004C50: D1340004 00003F04
	global_atomic_add_f32 v4, v43, s[16:17]                    // 000000004C58: DD348000 00102B04
	v_add_u32_e64 v4, v4, s31                                  // 000000004C60: D1340004 00003F04
	global_atomic_add_f32 v4, v44, s[16:17]                    // 000000004C68: DD348000 00102C04
	v_add_u32_e64 v4, v4, s31                                  // 000000004C70: D1340004 00003F04
	global_atomic_add_f32 v4, v45, s[16:17]                    // 000000004C78: DD348000 00102D04
	v_add_u32_e64 v4, v4, s31                                  // 000000004C80: D1340004 00003F04
	global_atomic_add_f32 v4, v46, s[16:17]                    // 000000004C88: DD348000 00102E04
	v_add_u32_e64 v4, v4, s31                                  // 000000004C90: D1340004 00003F04
	global_atomic_add_f32 v4, v47, s[16:17]                    // 000000004C98: DD348000 00102F04
	v_add_u32_e64 v4, v4, s31                                  // 000000004CA0: D1340004 00003F04
	global_atomic_add_f32 v4, v48, s[16:17]                    // 000000004CA8: DD348000 00103004
	v_add_u32_e64 v4, v4, s31                                  // 000000004CB0: D1340004 00003F04
	global_atomic_add_f32 v4, v49, s[16:17]                    // 000000004CB8: DD348000 00103104
	v_add_u32_e64 v4, v4, s31                                  // 000000004CC0: D1340004 00003F04
	global_atomic_add_f32 v4, v50, s[16:17]                    // 000000004CC8: DD348000 00103204
	v_add_u32_e64 v4, v4, s31                                  // 000000004CD0: D1340004 00003F04
	global_atomic_add_f32 v4, v51, s[16:17]                    // 000000004CD8: DD348000 00103304
	v_add_u32_e64 v4, v4, s31                                  // 000000004CE0: D1340004 00003F04
	s_barrier                                                  // 000000004CE8: BF8A0000
	s_cmp_eq_u32 s24, 0                                        // 000000004CEC: BF068018
	s_cbranch_scc0 label_0CFF                                  // 000000004CF0: BF840442
	s_atomic_dec s52, s[40:41], s62                            // 000000004CF4: C2300D14 0000003E
	s_branch label_0CFF                                        // 000000004CFC: BF82043F

0000000000004d00 <label_08C0>:
	v_lshrrev_b32_e32 v4, 4, v0                                // 000000004D00: 20080084
	v_mul_u32_u24_e32 v28, 34, v4                              // 000000004D04: 103808A2
	v_and_b32_e32 v4, 15, v0                                   // 000000004D08: 2608008F
	v_mul_lo_u32 v5, 2, v4                                     // 000000004D0C: D2850005 00020882
	v_add_u32_e32 v28, v5, v28                                 // 000000004D14: 68383905
	s_mul_i32 s31, s24, 0x88                                   // 000000004D18: 921FFF18 00000088
	v_add_u32_e32 v28, s31, v28                                // 000000004D20: 6838381F
	v_lshlrev_b32_e32 v28, 2, v28                              // 000000004D24: 24383882
	v_and_b32_e32 v4, 31, v0                                   // 000000004D28: 2608009F
	v_lshrrev_b32_e32 v5, 1, v4                                // 000000004D2C: 200A0881
	v_mul_u32_u24_e32 v31, 34, v5                              // 000000004D30: 103E0AA2
	v_and_b32_e32 v5, 1, v4                                    // 000000004D34: 260A0881
	v_add_u32_e32 v31, v5, v31                                 // 000000004D38: 683E3F05
	v_lshrrev_b32_e32 v4, 5, v0                                // 000000004D3C: 20080085
	v_mul_u32_u24_e32 v4, 8, v4                                // 000000004D40: 10080888
	v_add_u32_e32 v31, v4, v31                                 // 000000004D44: 683E3F04
	s_mul_i32 s31, s24, 2                                      // 000000004D48: 921F8218
	v_add_u32_e32 v31, s31, v31                                // 000000004D4C: 683E3E1F
	v_lshlrev_b32_e32 v31, 2, v31                              // 000000004D50: 243E3E82
	s_waitcnt vmcnt(0) expcnt(0) lgkmcnt(0)                    // 000000004D54: BF8C0000
	s_barrier                                                  // 000000004D58: BF8A0000
	v_cmp_u_f32_e64 s[60:61], v32, v32                         // 000000004D5C: D048003C 00024120
	v_add3_u32 v8, v32, v11, 1                                 // 000000004D64: D1FF0008 02061720
	v_cndmask_b32_e64 v4, v8, v10, s[60:61]                    // 000000004D6C: D1000004 00F21508
	v_cmp_u_f32_e64 s[60:61], v33, v33                         // 000000004D74: D048003C 00024321
	v_add3_u32 v8, v33, v11, 1                                 // 000000004D7C: D1FF0008 02061721
	v_cndmask_b32_e64 v5, v8, v10, s[60:61]                    // 000000004D84: D1000005 00F21508
	v_perm_b32 v52, v5, v4, s35                                // 000000004D8C: D1ED0034 008E0905
	v_cmp_u_f32_e64 s[60:61], v34, v34                         // 000000004D94: D048003C 00024522
	v_add3_u32 v8, v34, v11, 1                                 // 000000004D9C: D1FF0008 02061722
	v_cndmask_b32_e64 v4, v8, v10, s[60:61]                    // 000000004DA4: D1000004 00F21508
	v_cmp_u_f32_e64 s[60:61], v35, v35                         // 000000004DAC: D048003C 00024723
	v_add3_u32 v8, v35, v11, 1                                 // 000000004DB4: D1FF0008 02061723
	v_cndmask_b32_e64 v5, v8, v10, s[60:61]                    // 000000004DBC: D1000005 00F21508
	v_perm_b32 v53, v5, v4, s35                                // 000000004DC4: D1ED0035 008E0905
	v_cmp_u_f32_e64 s[60:61], v36, v36                         // 000000004DCC: D048003C 00024924
	v_add3_u32 v8, v36, v11, 1                                 // 000000004DD4: D1FF0008 02061724
	v_cndmask_b32_e64 v4, v8, v10, s[60:61]                    // 000000004DDC: D1000004 00F21508
	v_cmp_u_f32_e64 s[60:61], v37, v37                         // 000000004DE4: D048003C 00024B25
	v_add3_u32 v8, v37, v11, 1                                 // 000000004DEC: D1FF0008 02061725
	v_cndmask_b32_e64 v5, v8, v10, s[60:61]                    // 000000004DF4: D1000005 00F21508
	v_perm_b32 v54, v5, v4, s35                                // 000000004DFC: D1ED0036 008E0905
	v_cmp_u_f32_e64 s[60:61], v38, v38                         // 000000004E04: D048003C 00024D26
	v_add3_u32 v8, v38, v11, 1                                 // 000000004E0C: D1FF0008 02061726
	v_cndmask_b32_e64 v4, v8, v10, s[60:61]                    // 000000004E14: D1000004 00F21508
	v_cmp_u_f32_e64 s[60:61], v39, v39                         // 000000004E1C: D048003C 00024F27
	v_add3_u32 v8, v39, v11, 1                                 // 000000004E24: D1FF0008 02061727
	v_cndmask_b32_e64 v5, v8, v10, s[60:61]                    // 000000004E2C: D1000005 00F21508
	v_perm_b32 v55, v5, v4, s35                                // 000000004E34: D1ED0037 008E0905
	v_cmp_u_f32_e64 s[60:61], v40, v40                         // 000000004E3C: D048003C 00025128
	v_add3_u32 v8, v40, v11, 1                                 // 000000004E44: D1FF0008 02061728
	v_cndmask_b32_e64 v4, v8, v10, s[60:61]                    // 000000004E4C: D1000004 00F21508
	v_cmp_u_f32_e64 s[60:61], v41, v41                         // 000000004E54: D048003C 00025329
	v_add3_u32 v8, v41, v11, 1                                 // 000000004E5C: D1FF0008 02061729
	v_cndmask_b32_e64 v5, v8, v10, s[60:61]                    // 000000004E64: D1000005 00F21508
	v_perm_b32 v56, v5, v4, s35                                // 000000004E6C: D1ED0038 008E0905
	v_cmp_u_f32_e64 s[60:61], v42, v42                         // 000000004E74: D048003C 0002552A
	v_add3_u32 v8, v42, v11, 1                                 // 000000004E7C: D1FF0008 0206172A
	v_cndmask_b32_e64 v4, v8, v10, s[60:61]                    // 000000004E84: D1000004 00F21508
	v_cmp_u_f32_e64 s[60:61], v43, v43                         // 000000004E8C: D048003C 0002572B
	v_add3_u32 v8, v43, v11, 1                                 // 000000004E94: D1FF0008 0206172B
	v_cndmask_b32_e64 v5, v8, v10, s[60:61]                    // 000000004E9C: D1000005 00F21508
	v_perm_b32 v57, v5, v4, s35                                // 000000004EA4: D1ED0039 008E0905
	v_cmp_u_f32_e64 s[60:61], v44, v44                         // 000000004EAC: D048003C 0002592C
	v_add3_u32 v8, v44, v11, 1                                 // 000000004EB4: D1FF0008 0206172C
	v_cndmask_b32_e64 v4, v8, v10, s[60:61]                    // 000000004EBC: D1000004 00F21508
	v_cmp_u_f32_e64 s[60:61], v45, v45                         // 000000004EC4: D048003C 00025B2D
	v_add3_u32 v8, v45, v11, 1                                 // 000000004ECC: D1FF0008 0206172D
	v_cndmask_b32_e64 v5, v8, v10, s[60:61]                    // 000000004ED4: D1000005 00F21508
	v_perm_b32 v58, v5, v4, s35                                // 000000004EDC: D1ED003A 008E0905
	v_cmp_u_f32_e64 s[60:61], v46, v46                         // 000000004EE4: D048003C 00025D2E
	v_add3_u32 v8, v46, v11, 1                                 // 000000004EEC: D1FF0008 0206172E
	v_cndmask_b32_e64 v4, v8, v10, s[60:61]                    // 000000004EF4: D1000004 00F21508
	v_cmp_u_f32_e64 s[60:61], v47, v47                         // 000000004EFC: D048003C 00025F2F
	v_add3_u32 v8, v47, v11, 1                                 // 000000004F04: D1FF0008 0206172F
	v_cndmask_b32_e64 v5, v8, v10, s[60:61]                    // 000000004F0C: D1000005 00F21508
	v_perm_b32 v59, v5, v4, s35                                // 000000004F14: D1ED003B 008E0905
	v_cmp_u_f32_e64 s[60:61], v48, v48                         // 000000004F1C: D048003C 00026130
	v_add3_u32 v8, v48, v11, 1                                 // 000000004F24: D1FF0008 02061730
	v_cndmask_b32_e64 v4, v8, v10, s[60:61]                    // 000000004F2C: D1000004 00F21508
	v_cmp_u_f32_e64 s[60:61], v49, v49                         // 000000004F34: D048003C 00026331
	v_add3_u32 v8, v49, v11, 1                                 // 000000004F3C: D1FF0008 02061731
	v_cndmask_b32_e64 v5, v8, v10, s[60:61]                    // 000000004F44: D1000005 00F21508
	v_perm_b32 v60, v5, v4, s35                                // 000000004F4C: D1ED003C 008E0905
	v_cmp_u_f32_e64 s[60:61], v50, v50                         // 000000004F54: D048003C 00026532
	v_add3_u32 v8, v50, v11, 1                                 // 000000004F5C: D1FF0008 02061732
	v_cndmask_b32_e64 v4, v8, v10, s[60:61]                    // 000000004F64: D1000004 00F21508
	v_cmp_u_f32_e64 s[60:61], v51, v51                         // 000000004F6C: D048003C 00026733
	v_add3_u32 v8, v51, v11, 1                                 // 000000004F74: D1FF0008 02061733
	v_cndmask_b32_e64 v5, v8, v10, s[60:61]                    // 000000004F7C: D1000005 00F21508
	v_perm_b32 v61, v5, v4, s35                                // 000000004F84: D1ED003D 008E0905
	ds_write_b64 v28, v[52:53]                                 // 000000004F8C: D89A0000 0000341C
	ds_write_b64 v28, v[54:55] offset:2176                     // 000000004F94: D89A0880 0000361C
	ds_write_b64 v28, v[56:57] offset:4352                     // 000000004F9C: D89A1100 0000381C
	ds_write_b64 v28, v[58:59] offset:6528                     // 000000004FA4: D89A1980 00003A1C
	ds_write_b64 v28, v[60:61] offset:8704                     // 000000004FAC: D89A2200 00003C1C
	s_waitcnt lgkmcnt(0)                                       // 000000004FB4: BF8CC07F
	s_barrier                                                  // 000000004FB8: BF8A0000
	ds_read_b32 v52, v31                                       // 000000004FBC: D86C0000 3400001F
	ds_read_b32 v53, v31 offset:64                             // 000000004FC4: D86C0040 3500001F
	ds_read_b32 v54, v31 offset:2176                           // 000000004FCC: D86C0880 3600001F
	ds_read_b32 v55, v31 offset:2240                           // 000000004FD4: D86C08C0 3700001F
	ds_read_b32 v56, v31 offset:4352                           // 000000004FDC: D86C1100 3800001F
	ds_read_b32 v57, v31 offset:4416                           // 000000004FE4: D86C1140 3900001F
	ds_read_b32 v58, v31 offset:6528                           // 000000004FEC: D86C1980 3A00001F
	ds_read_b32 v59, v31 offset:6592                           // 000000004FF4: D86C19C0 3B00001F
	ds_read_b32 v60, v31 offset:8704                           // 000000004FFC: D86C2200 3C00001F
	ds_read_b32 v61, v31 offset:8768                           // 000000005004: D86C2240 3D00001F
	s_waitcnt lgkmcnt(0)                                       // 00000000500C: BF8CC07F
	s_cmp_eq_u32 s24, 0                                        // 000000005010: BF068018
	s_cbranch_scc0 label_098C                                  // 000000005014: BF840006
	s_mov_b32 s31, 0                                           // 000000005018: BE9F0080

000000000000501c <label_0987>:
	s_load_dword s32, s[40:41], s62 glc                        // 00000000501C: C0010814 0000003E
	s_waitcnt lgkmcnt(0)                                       // 000000005024: BF8CC07F
	s_cmp_gt_u32 s32, s31                                      // 000000005028: BF081F20
	s_cbranch_scc0 label_0987                                  // 00000000502C: BF84FFFB

0000000000005030 <label_098C>:
	s_barrier                                                  // 000000005030: BF8A0000
	s_mul_i32 s31, s30, 8                                      // 000000005034: 921F881E
	v_mov_b32_e32 v4, v17                                      // 000000005038: 7E080311
	global_atomic_pk_add_bf16 v4, v52, s[16:17]                // 00000000503C: DD488000 00103404
	v_add_u32_e64 v4, v4, s31                                  // 000000005044: D1340004 00003F04
	global_atomic_pk_add_bf16 v4, v53, s[16:17]                // 00000000504C: DD488000 00103504
	v_add_u32_e64 v4, v4, s31                                  // 000000005054: D1340004 00003F04
	global_atomic_pk_add_bf16 v4, v54, s[16:17]                // 00000000505C: DD488000 00103604
	v_add_u32_e64 v4, v4, s31                                  // 000000005064: D1340004 00003F04
	global_atomic_pk_add_bf16 v4, v55, s[16:17]                // 00000000506C: DD488000 00103704
	v_add_u32_e64 v4, v4, s31                                  // 000000005074: D1340004 00003F04
	global_atomic_pk_add_bf16 v4, v56, s[16:17]                // 00000000507C: DD488000 00103804
	v_add_u32_e64 v4, v4, s31                                  // 000000005084: D1340004 00003F04
	global_atomic_pk_add_bf16 v4, v57, s[16:17]                // 00000000508C: DD488000 00103904
	v_add_u32_e64 v4, v4, s31                                  // 000000005094: D1340004 00003F04
	global_atomic_pk_add_bf16 v4, v58, s[16:17]                // 00000000509C: DD488000 00103A04
	v_add_u32_e64 v4, v4, s31                                  // 0000000050A4: D1340004 00003F04
	global_atomic_pk_add_bf16 v4, v59, s[16:17]                // 0000000050AC: DD488000 00103B04
	v_add_u32_e64 v4, v4, s31                                  // 0000000050B4: D1340004 00003F04
	global_atomic_pk_add_bf16 v4, v60, s[16:17]                // 0000000050BC: DD488000 00103C04
	v_add_u32_e64 v4, v4, s31                                  // 0000000050C4: D1340004 00003F04
	global_atomic_pk_add_bf16 v4, v61, s[16:17]                // 0000000050CC: DD488000 00103D04
	v_add_u32_e64 v4, v4, s31                                  // 0000000050D4: D1340004 00003F04
	s_barrier                                                  // 0000000050DC: BF8A0000
	s_cmp_eq_u32 s24, 0                                        // 0000000050E0: BF068018
	s_cbranch_scc0 label_0CFF                                  // 0000000050E4: BF840345
	s_atomic_dec s52, s[40:41], s62                            // 0000000050E8: C2300D14 0000003E
	s_branch label_0CFF                                        // 0000000050F0: BF820342

00000000000050f4 <label_09BD>:
	v_mov_b32_e32 v5, 0                                        // 0000000050F4: 7E0A0280
	s_and_b32 s17, s17, 0xffff                                 // 0000000050F8: 8611FF11 0000FFFF
	s_cmp_lt_u32 s54, 1                                        // 000000005100: BF0A8136
	s_cbranch_scc0 label_0AAF                                  // 000000005104: BF8400ED
	v_lshrrev_b32_e32 v4, 4, v0                                // 000000005108: 20080084
	v_mul_u32_u24_e32 v28, 0x44, v4                            // 00000000510C: 103808FF 00000044
	v_and_b32_e32 v4, 15, v0                                   // 000000005114: 2608008F
	v_mul_lo_u32 v5, 4, v4                                     // 000000005118: D2850005 00020884
	v_add_u32_e32 v28, v5, v28                                 // 000000005120: 68383905
	s_mul_i32 s31, s24, 0x110                                  // 000000005124: 921FFF18 00000110
	v_add_u32_e32 v28, s31, v28                                // 00000000512C: 6838381F
	v_lshlrev_b32_e32 v28, 2, v28                              // 000000005130: 24383882
	v_lshrrev_b32_e32 v4, 2, v0                                // 000000005134: 20080082
	v_mul_u32_u24_e32 v31, 0x44, v4                            // 000000005138: 103E08FF 00000044
	v_and_b32_e32 v4, 3, v0                                    // 000000005140: 26080083
	v_add_u32_e32 v31, v4, v31                                 // 000000005144: 683E3F04
	s_mul_i32 s31, s24, 4                                      // 000000005148: 921F8418
	v_add_u32_e32 v31, s31, v31                                // 00000000514C: 683E3E1F
	v_lshlrev_b32_e32 v31, 2, v31                              // 000000005150: 243E3E82
	s_lshr_b32 s31, s55, 2                                     // 000000005154: 8F1F8237
	s_and_b32 s32, s55, 3                                      // 000000005158: 86208337
	s_cmp_lt_u32 s24, s32                                      // 00000000515C: BF0A2018
	s_cselect_b32 s32, 1, 0                                    // 000000005160: 85208081
	s_add_u32 s55, s31, s32                                    // 000000005164: 8037201F
	s_mov_b32 s33, 0                                           // 000000005168: BEA10080
	s_waitcnt vmcnt(0) expcnt(0) lgkmcnt(0)                    // 00000000516C: BF8C0000
	s_barrier                                                  // 000000005170: BF8A0000
	ds_write_b128 v28, v[32:35]                                // 000000005174: D9BE0000 0000201C
	ds_write_b128 v28, v[36:39] offset:4352                    // 00000000517C: D9BE1100 0000241C
	ds_write_b128 v28, v[40:43] offset:8704                    // 000000005184: D9BE2200 0000281C
	ds_write_b128 v28, v[44:47] offset:13056                   // 00000000518C: D9BE3300 00002C1C
	ds_write_b128 v28, v[48:51] offset:17408                   // 000000005194: D9BE4400 0000301C
	s_waitcnt lgkmcnt(0)                                       // 00000000519C: BF8CC07F
	s_barrier                                                  // 0000000051A0: BF8A0000
	ds_read_b32 v32, v31                                       // 0000000051A4: D86C0000 2000001F
	ds_read_b32 v33, v31 offset:64                             // 0000000051AC: D86C0040 2100001F
	ds_read_b32 v34, v31 offset:128                            // 0000000051B4: D86C0080 2200001F
	ds_read_b32 v35, v31 offset:192                            // 0000000051BC: D86C00C0 2300001F
	ds_read_b32 v36, v31 offset:4352                           // 0000000051C4: D86C1100 2400001F
	ds_read_b32 v37, v31 offset:4416                           // 0000000051CC: D86C1140 2500001F
	ds_read_b32 v38, v31 offset:4480                           // 0000000051D4: D86C1180 2600001F
	ds_read_b32 v39, v31 offset:4544                           // 0000000051DC: D86C11C0 2700001F
	ds_read_b32 v40, v31 offset:8704                           // 0000000051E4: D86C2200 2800001F
	ds_read_b32 v41, v31 offset:8768                           // 0000000051EC: D86C2240 2900001F
	ds_read_b32 v42, v31 offset:8832                           // 0000000051F4: D86C2280 2A00001F
	ds_read_b32 v43, v31 offset:8896                           // 0000000051FC: D86C22C0 2B00001F
	ds_read_b32 v44, v31 offset:13056                          // 000000005204: D86C3300 2C00001F
	ds_read_b32 v45, v31 offset:13120                          // 00000000520C: D86C3340 2D00001F
	ds_read_b32 v46, v31 offset:13184                          // 000000005214: D86C3380 2E00001F
	ds_read_b32 v47, v31 offset:13248                          // 00000000521C: D86C33C0 2F00001F
	ds_read_b32 v48, v31 offset:17408                          // 000000005224: D86C4400 3000001F
	ds_read_b32 v49, v31 offset:17472                          // 00000000522C: D86C4440 3100001F
	ds_read_b32 v50, v31 offset:17536                          // 000000005234: D86C4480 3200001F
	ds_read_b32 v51, v31 offset:17600                          // 00000000523C: D86C44C0 3300001F
	s_waitcnt lgkmcnt(0)                                       // 000000005244: BF8CC07F
	s_cmp_eq_u32 s24, 0                                        // 000000005248: BF068018
	s_cbranch_scc0 label_0A1A                                  // 00000000524C: BF840006
	s_mov_b32 s31, 0                                           // 000000005250: BE9F0080

0000000000005254 <label_0A15>:
	s_load_dword s32, s[40:41], s62 glc                        // 000000005254: C0010814 0000003E
	s_waitcnt lgkmcnt(0)                                       // 00000000525C: BF8CC07F
	s_cmp_gt_u32 s32, s31                                      // 000000005260: BF081F20
	s_cbranch_scc0 label_0A15                                  // 000000005264: BF84FFFB

0000000000005268 <label_0A1A>:
	s_barrier                                                  // 000000005268: BF8A0000
	s_mul_i32 s31, s30, 4                                      // 00000000526C: 921F841E
	v_mov_b32_e32 v4, v17                                      // 000000005270: 7E080311
	s_cmp_lt_i32 s33, s55                                      // 000000005274: BF043721
	s_cbranch_scc0 label_0AA9                                  // 000000005278: BF84008A
	global_atomic_add_f32 v4, v32, s[16:17]                    // 00000000527C: DD348000 00102004
	v_add_u32_e64 v4, v4, s31                                  // 000000005284: D1340004 00003F04
	s_addk_i32 s33, 0x1                                        // 00000000528C: B7210001
	s_cmp_lt_i32 s33, s55                                      // 000000005290: BF043721
	s_cbranch_scc0 label_0AA9                                  // 000000005294: BF840083
	global_atomic_add_f32 v4, v33, s[16:17]                    // 000000005298: DD348000 00102104
	v_add_u32_e64 v4, v4, s31                                  // 0000000052A0: D1340004 00003F04
	s_addk_i32 s33, 0x1                                        // 0000000052A8: B7210001
	s_cmp_lt_i32 s33, s55                                      // 0000000052AC: BF043721
	s_cbranch_scc0 label_0AA9                                  // 0000000052B0: BF84007C
	global_atomic_add_f32 v4, v34, s[16:17]                    // 0000000052B4: DD348000 00102204
	v_add_u32_e64 v4, v4, s31                                  // 0000000052BC: D1340004 00003F04
	s_addk_i32 s33, 0x1                                        // 0000000052C4: B7210001
	s_cmp_lt_i32 s33, s55                                      // 0000000052C8: BF043721
	s_cbranch_scc0 label_0AA9                                  // 0000000052CC: BF840075
	global_atomic_add_f32 v4, v35, s[16:17]                    // 0000000052D0: DD348000 00102304
	v_add_u32_e64 v4, v4, s31                                  // 0000000052D8: D1340004 00003F04
	s_addk_i32 s33, 0x1                                        // 0000000052E0: B7210001
	s_cmp_lt_i32 s33, s55                                      // 0000000052E4: BF043721
	s_cbranch_scc0 label_0AA9                                  // 0000000052E8: BF84006E
	global_atomic_add_f32 v4, v36, s[16:17]                    // 0000000052EC: DD348000 00102404
	v_add_u32_e64 v4, v4, s31                                  // 0000000052F4: D1340004 00003F04
	s_addk_i32 s33, 0x1                                        // 0000000052FC: B7210001
	s_cmp_lt_i32 s33, s55                                      // 000000005300: BF043721
	s_cbranch_scc0 label_0AA9                                  // 000000005304: BF840067
	global_atomic_add_f32 v4, v37, s[16:17]                    // 000000005308: DD348000 00102504
	v_add_u32_e64 v4, v4, s31                                  // 000000005310: D1340004 00003F04
	s_addk_i32 s33, 0x1                                        // 000000005318: B7210001
	s_cmp_lt_i32 s33, s55                                      // 00000000531C: BF043721
	s_cbranch_scc0 label_0AA9                                  // 000000005320: BF840060
	global_atomic_add_f32 v4, v38, s[16:17]                    // 000000005324: DD348000 00102604
	v_add_u32_e64 v4, v4, s31                                  // 00000000532C: D1340004 00003F04
	s_addk_i32 s33, 0x1                                        // 000000005334: B7210001
	s_cmp_lt_i32 s33, s55                                      // 000000005338: BF043721
	s_cbranch_scc0 label_0AA9                                  // 00000000533C: BF840059
	global_atomic_add_f32 v4, v39, s[16:17]                    // 000000005340: DD348000 00102704
	v_add_u32_e64 v4, v4, s31                                  // 000000005348: D1340004 00003F04
	s_addk_i32 s33, 0x1                                        // 000000005350: B7210001
	s_cmp_lt_i32 s33, s55                                      // 000000005354: BF043721
	s_cbranch_scc0 label_0AA9                                  // 000000005358: BF840052
	global_atomic_add_f32 v4, v40, s[16:17]                    // 00000000535C: DD348000 00102804
	v_add_u32_e64 v4, v4, s31                                  // 000000005364: D1340004 00003F04
	s_addk_i32 s33, 0x1                                        // 00000000536C: B7210001
	s_cmp_lt_i32 s33, s55                                      // 000000005370: BF043721
	s_cbranch_scc0 label_0AA9                                  // 000000005374: BF84004B
	global_atomic_add_f32 v4, v41, s[16:17]                    // 000000005378: DD348000 00102904
	v_add_u32_e64 v4, v4, s31                                  // 000000005380: D1340004 00003F04
	s_addk_i32 s33, 0x1                                        // 000000005388: B7210001
	s_cmp_lt_i32 s33, s55                                      // 00000000538C: BF043721
	s_cbranch_scc0 label_0AA9                                  // 000000005390: BF840044
	global_atomic_add_f32 v4, v42, s[16:17]                    // 000000005394: DD348000 00102A04
	v_add_u32_e64 v4, v4, s31                                  // 00000000539C: D1340004 00003F04
	s_addk_i32 s33, 0x1                                        // 0000000053A4: B7210001
	s_cmp_lt_i32 s33, s55                                      // 0000000053A8: BF043721
	s_cbranch_scc0 label_0AA9                                  // 0000000053AC: BF84003D
	global_atomic_add_f32 v4, v43, s[16:17]                    // 0000000053B0: DD348000 00102B04
	v_add_u32_e64 v4, v4, s31                                  // 0000000053B8: D1340004 00003F04
	s_addk_i32 s33, 0x1                                        // 0000000053C0: B7210001
	s_cmp_lt_i32 s33, s55                                      // 0000000053C4: BF043721
	s_cbranch_scc0 label_0AA9                                  // 0000000053C8: BF840036
	global_atomic_add_f32 v4, v44, s[16:17]                    // 0000000053CC: DD348000 00102C04
	v_add_u32_e64 v4, v4, s31                                  // 0000000053D4: D1340004 00003F04
	s_addk_i32 s33, 0x1                                        // 0000000053DC: B7210001
	s_cmp_lt_i32 s33, s55                                      // 0000000053E0: BF043721
	s_cbranch_scc0 label_0AA9                                  // 0000000053E4: BF84002F
	global_atomic_add_f32 v4, v45, s[16:17]                    // 0000000053E8: DD348000 00102D04
	v_add_u32_e64 v4, v4, s31                                  // 0000000053F0: D1340004 00003F04
	s_addk_i32 s33, 0x1                                        // 0000000053F8: B7210001
	s_cmp_lt_i32 s33, s55                                      // 0000000053FC: BF043721
	s_cbranch_scc0 label_0AA9                                  // 000000005400: BF840028
	global_atomic_add_f32 v4, v46, s[16:17]                    // 000000005404: DD348000 00102E04
	v_add_u32_e64 v4, v4, s31                                  // 00000000540C: D1340004 00003F04
	s_addk_i32 s33, 0x1                                        // 000000005414: B7210001
	s_cmp_lt_i32 s33, s55                                      // 000000005418: BF043721
	s_cbranch_scc0 label_0AA9                                  // 00000000541C: BF840021
	global_atomic_add_f32 v4, v47, s[16:17]                    // 000000005420: DD348000 00102F04
	v_add_u32_e64 v4, v4, s31                                  // 000000005428: D1340004 00003F04
	s_addk_i32 s33, 0x1                                        // 000000005430: B7210001
	s_cmp_lt_i32 s33, s55                                      // 000000005434: BF043721
	s_cbranch_scc0 label_0AA9                                  // 000000005438: BF84001A
	global_atomic_add_f32 v4, v48, s[16:17]                    // 00000000543C: DD348000 00103004
	v_add_u32_e64 v4, v4, s31                                  // 000000005444: D1340004 00003F04
	s_addk_i32 s33, 0x1                                        // 00000000544C: B7210001
	s_cmp_lt_i32 s33, s55                                      // 000000005450: BF043721
	s_cbranch_scc0 label_0AA9                                  // 000000005454: BF840013
	global_atomic_add_f32 v4, v49, s[16:17]                    // 000000005458: DD348000 00103104
	v_add_u32_e64 v4, v4, s31                                  // 000000005460: D1340004 00003F04
	s_addk_i32 s33, 0x1                                        // 000000005468: B7210001
	s_cmp_lt_i32 s33, s55                                      // 00000000546C: BF043721
	s_cbranch_scc0 label_0AA9                                  // 000000005470: BF84000C
	global_atomic_add_f32 v4, v50, s[16:17]                    // 000000005474: DD348000 00103204
	v_add_u32_e64 v4, v4, s31                                  // 00000000547C: D1340004 00003F04
	s_addk_i32 s33, 0x1                                        // 000000005484: B7210001
	s_cmp_lt_i32 s33, s55                                      // 000000005488: BF043721
	s_cbranch_scc0 label_0AA9                                  // 00000000548C: BF840005
	global_atomic_add_f32 v4, v51, s[16:17]                    // 000000005490: DD348000 00103304
	v_add_u32_e64 v4, v4, s31                                  // 000000005498: D1340004 00003F04
	s_addk_i32 s33, 0x1                                        // 0000000054A0: B7210001

00000000000054a4 <label_0AA9>:
	s_barrier                                                  // 0000000054A4: BF8A0000
	s_cmp_eq_u32 s24, 0                                        // 0000000054A8: BF068018
	s_cbranch_scc0 label_0CFF                                  // 0000000054AC: BF840253
	s_atomic_dec s52, s[40:41], s62                            // 0000000054B0: C2300D14 0000003E
	s_branch label_0CFF                                        // 0000000054B8: BF820250

00000000000054bc <label_0AAF>:
	v_lshrrev_b32_e32 v4, 4, v0                                // 0000000054BC: 20080084
	v_mul_u32_u24_e32 v28, 34, v4                              // 0000000054C0: 103808A2
	v_and_b32_e32 v4, 15, v0                                   // 0000000054C4: 2608008F
	v_mul_lo_u32 v5, 2, v4                                     // 0000000054C8: D2850005 00020882
	v_add_u32_e32 v28, v5, v28                                 // 0000000054D0: 68383905
	s_mul_i32 s31, s24, 0x88                                   // 0000000054D4: 921FFF18 00000088
	v_add_u32_e32 v28, s31, v28                                // 0000000054DC: 6838381F
	v_lshlrev_b32_e32 v28, 2, v28                              // 0000000054E0: 24383882
	v_and_b32_e32 v4, 31, v0                                   // 0000000054E4: 2608009F
	v_lshrrev_b32_e32 v5, 1, v4                                // 0000000054E8: 200A0881
	v_mul_u32_u24_e32 v31, 34, v5                              // 0000000054EC: 103E0AA2
	v_and_b32_e32 v5, 1, v4                                    // 0000000054F0: 260A0881
	v_add_u32_e32 v31, v5, v31                                 // 0000000054F4: 683E3F05
	v_lshrrev_b32_e32 v4, 5, v0                                // 0000000054F8: 20080085
	v_mul_u32_u24_e32 v4, 8, v4                                // 0000000054FC: 10080888
	v_add_u32_e32 v31, v4, v31                                 // 000000005500: 683E3F04
	s_mul_i32 s31, s24, 2                                      // 000000005504: 921F8218
	v_add_u32_e32 v31, s31, v31                                // 000000005508: 683E3E1F
	v_lshlrev_b32_e32 v31, 2, v31                              // 00000000550C: 243E3E82
	s_lshr_b32 s31, s55, 2                                     // 000000005510: 8F1F8237
	s_and_b32 s32, s55, 3                                      // 000000005514: 86208337
	s_cmp_lt_u32 s24, s32                                      // 000000005518: BF0A2018
	s_cselect_b32 s32, 1, 0                                    // 00000000551C: 85208081
	s_add_u32 s55, s31, s32                                    // 000000005520: 8037201F
	s_mov_b32 s33, 0                                           // 000000005524: BEA10080
	s_waitcnt vmcnt(0) expcnt(0) lgkmcnt(0)                    // 000000005528: BF8C0000
	s_barrier                                                  // 00000000552C: BF8A0000
	v_cmp_u_f32_e64 s[60:61], v32, v32                         // 000000005530: D048003C 00024120
	v_add3_u32 v8, v32, v11, 1                                 // 000000005538: D1FF0008 02061720
	v_cndmask_b32_e64 v4, v8, v10, s[60:61]                    // 000000005540: D1000004 00F21508
	v_cmp_u_f32_e64 s[60:61], v33, v33                         // 000000005548: D048003C 00024321
	v_add3_u32 v8, v33, v11, 1                                 // 000000005550: D1FF0008 02061721
	v_cndmask_b32_e64 v5, v8, v10, s[60:61]                    // 000000005558: D1000005 00F21508
	v_perm_b32 v52, v5, v4, s35                                // 000000005560: D1ED0034 008E0905
	v_cmp_u_f32_e64 s[60:61], v34, v34                         // 000000005568: D048003C 00024522
	v_add3_u32 v8, v34, v11, 1                                 // 000000005570: D1FF0008 02061722
	v_cndmask_b32_e64 v4, v8, v10, s[60:61]                    // 000000005578: D1000004 00F21508
	v_cmp_u_f32_e64 s[60:61], v35, v35                         // 000000005580: D048003C 00024723
	v_add3_u32 v8, v35, v11, 1                                 // 000000005588: D1FF0008 02061723
	v_cndmask_b32_e64 v5, v8, v10, s[60:61]                    // 000000005590: D1000005 00F21508
	v_perm_b32 v53, v5, v4, s35                                // 000000005598: D1ED0035 008E0905
	v_cmp_u_f32_e64 s[60:61], v36, v36                         // 0000000055A0: D048003C 00024924
	v_add3_u32 v8, v36, v11, 1                                 // 0000000055A8: D1FF0008 02061724
	v_cndmask_b32_e64 v4, v8, v10, s[60:61]                    // 0000000055B0: D1000004 00F21508
	v_cmp_u_f32_e64 s[60:61], v37, v37                         // 0000000055B8: D048003C 00024B25
	v_add3_u32 v8, v37, v11, 1                                 // 0000000055C0: D1FF0008 02061725
	v_cndmask_b32_e64 v5, v8, v10, s[60:61]                    // 0000000055C8: D1000005 00F21508
	v_perm_b32 v54, v5, v4, s35                                // 0000000055D0: D1ED0036 008E0905
	v_cmp_u_f32_e64 s[60:61], v38, v38                         // 0000000055D8: D048003C 00024D26
	v_add3_u32 v8, v38, v11, 1                                 // 0000000055E0: D1FF0008 02061726
	v_cndmask_b32_e64 v4, v8, v10, s[60:61]                    // 0000000055E8: D1000004 00F21508
	v_cmp_u_f32_e64 s[60:61], v39, v39                         // 0000000055F0: D048003C 00024F27
	v_add3_u32 v8, v39, v11, 1                                 // 0000000055F8: D1FF0008 02061727
	v_cndmask_b32_e64 v5, v8, v10, s[60:61]                    // 000000005600: D1000005 00F21508
	v_perm_b32 v55, v5, v4, s35                                // 000000005608: D1ED0037 008E0905
	v_cmp_u_f32_e64 s[60:61], v40, v40                         // 000000005610: D048003C 00025128
	v_add3_u32 v8, v40, v11, 1                                 // 000000005618: D1FF0008 02061728
	v_cndmask_b32_e64 v4, v8, v10, s[60:61]                    // 000000005620: D1000004 00F21508
	v_cmp_u_f32_e64 s[60:61], v41, v41                         // 000000005628: D048003C 00025329
	v_add3_u32 v8, v41, v11, 1                                 // 000000005630: D1FF0008 02061729
	v_cndmask_b32_e64 v5, v8, v10, s[60:61]                    // 000000005638: D1000005 00F21508
	v_perm_b32 v56, v5, v4, s35                                // 000000005640: D1ED0038 008E0905
	v_cmp_u_f32_e64 s[60:61], v42, v42                         // 000000005648: D048003C 0002552A
	v_add3_u32 v8, v42, v11, 1                                 // 000000005650: D1FF0008 0206172A
	v_cndmask_b32_e64 v4, v8, v10, s[60:61]                    // 000000005658: D1000004 00F21508
	v_cmp_u_f32_e64 s[60:61], v43, v43                         // 000000005660: D048003C 0002572B
	v_add3_u32 v8, v43, v11, 1                                 // 000000005668: D1FF0008 0206172B
	v_cndmask_b32_e64 v5, v8, v10, s[60:61]                    // 000000005670: D1000005 00F21508
	v_perm_b32 v57, v5, v4, s35                                // 000000005678: D1ED0039 008E0905
	v_cmp_u_f32_e64 s[60:61], v44, v44                         // 000000005680: D048003C 0002592C
	v_add3_u32 v8, v44, v11, 1                                 // 000000005688: D1FF0008 0206172C
	v_cndmask_b32_e64 v4, v8, v10, s[60:61]                    // 000000005690: D1000004 00F21508
	v_cmp_u_f32_e64 s[60:61], v45, v45                         // 000000005698: D048003C 00025B2D
	v_add3_u32 v8, v45, v11, 1                                 // 0000000056A0: D1FF0008 0206172D
	v_cndmask_b32_e64 v5, v8, v10, s[60:61]                    // 0000000056A8: D1000005 00F21508
	v_perm_b32 v58, v5, v4, s35                                // 0000000056B0: D1ED003A 008E0905
	v_cmp_u_f32_e64 s[60:61], v46, v46                         // 0000000056B8: D048003C 00025D2E
	v_add3_u32 v8, v46, v11, 1                                 // 0000000056C0: D1FF0008 0206172E
	v_cndmask_b32_e64 v4, v8, v10, s[60:61]                    // 0000000056C8: D1000004 00F21508
	v_cmp_u_f32_e64 s[60:61], v47, v47                         // 0000000056D0: D048003C 00025F2F
	v_add3_u32 v8, v47, v11, 1                                 // 0000000056D8: D1FF0008 0206172F
	v_cndmask_b32_e64 v5, v8, v10, s[60:61]                    // 0000000056E0: D1000005 00F21508
	v_perm_b32 v59, v5, v4, s35                                // 0000000056E8: D1ED003B 008E0905
	v_cmp_u_f32_e64 s[60:61], v48, v48                         // 0000000056F0: D048003C 00026130
	v_add3_u32 v8, v48, v11, 1                                 // 0000000056F8: D1FF0008 02061730
	v_cndmask_b32_e64 v4, v8, v10, s[60:61]                    // 000000005700: D1000004 00F21508
	v_cmp_u_f32_e64 s[60:61], v49, v49                         // 000000005708: D048003C 00026331
	v_add3_u32 v8, v49, v11, 1                                 // 000000005710: D1FF0008 02061731
	v_cndmask_b32_e64 v5, v8, v10, s[60:61]                    // 000000005718: D1000005 00F21508
	v_perm_b32 v60, v5, v4, s35                                // 000000005720: D1ED003C 008E0905
	v_cmp_u_f32_e64 s[60:61], v50, v50                         // 000000005728: D048003C 00026532
	v_add3_u32 v8, v50, v11, 1                                 // 000000005730: D1FF0008 02061732
	v_cndmask_b32_e64 v4, v8, v10, s[60:61]                    // 000000005738: D1000004 00F21508
	v_cmp_u_f32_e64 s[60:61], v51, v51                         // 000000005740: D048003C 00026733
	v_add3_u32 v8, v51, v11, 1                                 // 000000005748: D1FF0008 02061733
	v_cndmask_b32_e64 v5, v8, v10, s[60:61]                    // 000000005750: D1000005 00F21508
	v_perm_b32 v61, v5, v4, s35                                // 000000005758: D1ED003D 008E0905
	ds_write_b64 v28, v[52:53]                                 // 000000005760: D89A0000 0000341C
	ds_write_b64 v28, v[54:55] offset:2176                     // 000000005768: D89A0880 0000361C
	ds_write_b64 v28, v[56:57] offset:4352                     // 000000005770: D89A1100 0000381C
	ds_write_b64 v28, v[58:59] offset:6528                     // 000000005778: D89A1980 00003A1C
	ds_write_b64 v28, v[60:61] offset:8704                     // 000000005780: D89A2200 00003C1C
	s_waitcnt lgkmcnt(0)                                       // 000000005788: BF8CC07F
	s_barrier                                                  // 00000000578C: BF8A0000
	ds_read_b32 v52, v31                                       // 000000005790: D86C0000 3400001F
	ds_read_b32 v53, v31 offset:64                             // 000000005798: D86C0040 3500001F
	ds_read_b32 v54, v31 offset:2176                           // 0000000057A0: D86C0880 3600001F
	ds_read_b32 v55, v31 offset:2240                           // 0000000057A8: D86C08C0 3700001F
	ds_read_b32 v56, v31 offset:4352                           // 0000000057B0: D86C1100 3800001F
	ds_read_b32 v57, v31 offset:4416                           // 0000000057B8: D86C1140 3900001F
	ds_read_b32 v58, v31 offset:6528                           // 0000000057C0: D86C1980 3A00001F
	ds_read_b32 v59, v31 offset:6592                           // 0000000057C8: D86C19C0 3B00001F
	ds_read_b32 v60, v31 offset:8704                           // 0000000057D0: D86C2200 3C00001F
	ds_read_b32 v61, v31 offset:8768                           // 0000000057D8: D86C2240 3D00001F
	s_waitcnt lgkmcnt(0)                                       // 0000000057E0: BF8CC07F
	s_cmp_eq_u32 s24, 0                                        // 0000000057E4: BF068018
	s_cbranch_scc0 label_0B81                                  // 0000000057E8: BF840006
	s_mov_b32 s31, 0                                           // 0000000057EC: BE9F0080

00000000000057f0 <label_0B7C>:
	s_load_dword s32, s[40:41], s62 glc                        // 0000000057F0: C0010814 0000003E
	s_waitcnt lgkmcnt(0)                                       // 0000000057F8: BF8CC07F
	s_cmp_gt_u32 s32, s31                                      // 0000000057FC: BF081F20
	s_cbranch_scc0 label_0B7C                                  // 000000005800: BF84FFFB

0000000000005804 <label_0B81>:
	s_barrier                                                  // 000000005804: BF8A0000
	s_mul_i32 s31, s30, 8                                      // 000000005808: 921F881E
	v_mov_b32_e32 v4, v17                                      // 00000000580C: 7E080311
	s_cmp_lt_i32 s33, s55                                      // 000000005810: BF043721
	s_cbranch_scc0 label_0C56                                  // 000000005814: BF8400D0
	s_mov_b32 s58, -1                                          // 000000005818: BEBA00C1
	s_mov_b32 s59, 0                                           // 00000000581C: BEBB0080
	s_mov_b64 exec, s[58:59]                                   // 000000005820: BEFE013A
	global_atomic_pk_add_bf16 v4, v52, s[16:17]                // 000000005824: DD488000 00103404
	s_addk_i32 s33, 0x1                                        // 00000000582C: B7210001
	s_cmp_lt_i32 s33, s55                                      // 000000005830: BF043721
	s_cbranch_scc0 label_0C56                                  // 000000005834: BF8400C8
	s_mov_b32 s58, 0                                           // 000000005838: BEBA0080
	s_mov_b32 s59, -1                                          // 00000000583C: BEBB00C1
	s_mov_b64 exec, s[58:59]                                   // 000000005840: BEFE013A
	global_atomic_pk_add_bf16 v4, v52, s[16:17]                // 000000005844: DD488000 00103404
	s_addk_i32 s33, 0x1                                        // 00000000584C: B7210001
	s_mov_b32 s58, -1                                          // 000000005850: BEBA00C1
	s_mov_b32 s59, -1                                          // 000000005854: BEBB00C1
	s_mov_b64 exec, s[58:59]                                   // 000000005858: BEFE013A
	v_add_u32_e64 v4, v4, s31                                  // 00000000585C: D1340004 00003F04
	s_cmp_lt_i32 s33, s55                                      // 000000005864: BF043721
	s_cbranch_scc0 label_0C56                                  // 000000005868: BF8400BB
	s_mov_b32 s58, -1                                          // 00000000586C: BEBA00C1
	s_mov_b32 s59, 0                                           // 000000005870: BEBB0080
	s_mov_b64 exec, s[58:59]                                   // 000000005874: BEFE013A
	global_atomic_pk_add_bf16 v4, v53, s[16:17]                // 000000005878: DD488000 00103504
	s_addk_i32 s33, 0x1                                        // 000000005880: B7210001
	s_cmp_lt_i32 s33, s55                                      // 000000005884: BF043721
	s_cbranch_scc0 label_0C56                                  // 000000005888: BF8400B3
	s_mov_b32 s58, 0                                           // 00000000588C: BEBA0080
	s_mov_b32 s59, -1                                          // 000000005890: BEBB00C1
	s_mov_b64 exec, s[58:59]                                   // 000000005894: BEFE013A
	global_atomic_pk_add_bf16 v4, v53, s[16:17]                // 000000005898: DD488000 00103504
	s_addk_i32 s33, 0x1                                        // 0000000058A0: B7210001
	s_mov_b32 s58, -1                                          // 0000000058A4: BEBA00C1
	s_mov_b32 s59, -1                                          // 0000000058A8: BEBB00C1
	s_mov_b64 exec, s[58:59]                                   // 0000000058AC: BEFE013A
	v_add_u32_e64 v4, v4, s31                                  // 0000000058B0: D1340004 00003F04
	s_cmp_lt_i32 s33, s55                                      // 0000000058B8: BF043721
	s_cbranch_scc0 label_0C56                                  // 0000000058BC: BF8400A6
	s_mov_b32 s58, -1                                          // 0000000058C0: BEBA00C1
	s_mov_b32 s59, 0                                           // 0000000058C4: BEBB0080
	s_mov_b64 exec, s[58:59]                                   // 0000000058C8: BEFE013A
	global_atomic_pk_add_bf16 v4, v54, s[16:17]                // 0000000058CC: DD488000 00103604
	s_addk_i32 s33, 0x1                                        // 0000000058D4: B7210001
	s_cmp_lt_i32 s33, s55                                      // 0000000058D8: BF043721
	s_cbranch_scc0 label_0C56                                  // 0000000058DC: BF84009E
	s_mov_b32 s58, 0                                           // 0000000058E0: BEBA0080
	s_mov_b32 s59, -1                                          // 0000000058E4: BEBB00C1
	s_mov_b64 exec, s[58:59]                                   // 0000000058E8: BEFE013A
	global_atomic_pk_add_bf16 v4, v54, s[16:17]                // 0000000058EC: DD488000 00103604
	s_addk_i32 s33, 0x1                                        // 0000000058F4: B7210001
	s_mov_b32 s58, -1                                          // 0000000058F8: BEBA00C1
	s_mov_b32 s59, -1                                          // 0000000058FC: BEBB00C1
	s_mov_b64 exec, s[58:59]                                   // 000000005900: BEFE013A
	v_add_u32_e64 v4, v4, s31                                  // 000000005904: D1340004 00003F04
	s_cmp_lt_i32 s33, s55                                      // 00000000590C: BF043721
	s_cbranch_scc0 label_0C56                                  // 000000005910: BF840091
	s_mov_b32 s58, -1                                          // 000000005914: BEBA00C1
	s_mov_b32 s59, 0                                           // 000000005918: BEBB0080
	s_mov_b64 exec, s[58:59]                                   // 00000000591C: BEFE013A
	global_atomic_pk_add_bf16 v4, v55, s[16:17]                // 000000005920: DD488000 00103704
	s_addk_i32 s33, 0x1                                        // 000000005928: B7210001
	s_cmp_lt_i32 s33, s55                                      // 00000000592C: BF043721
	s_cbranch_scc0 label_0C56                                  // 000000005930: BF840089
	s_mov_b32 s58, 0                                           // 000000005934: BEBA0080
	s_mov_b32 s59, -1                                          // 000000005938: BEBB00C1
	s_mov_b64 exec, s[58:59]                                   // 00000000593C: BEFE013A
	global_atomic_pk_add_bf16 v4, v55, s[16:17]                // 000000005940: DD488000 00103704
	s_addk_i32 s33, 0x1                                        // 000000005948: B7210001
	s_mov_b32 s58, -1                                          // 00000000594C: BEBA00C1
	s_mov_b32 s59, -1                                          // 000000005950: BEBB00C1
	s_mov_b64 exec, s[58:59]                                   // 000000005954: BEFE013A
	v_add_u32_e64 v4, v4, s31                                  // 000000005958: D1340004 00003F04
	s_cmp_lt_i32 s33, s55                                      // 000000005960: BF043721
	s_cbranch_scc0 label_0C56                                  // 000000005964: BF84007C
	s_mov_b32 s58, -1                                          // 000000005968: BEBA00C1
	s_mov_b32 s59, 0                                           // 00000000596C: BEBB0080
	s_mov_b64 exec, s[58:59]                                   // 000000005970: BEFE013A
	global_atomic_pk_add_bf16 v4, v56, s[16:17]                // 000000005974: DD488000 00103804
	s_addk_i32 s33, 0x1                                        // 00000000597C: B7210001
	s_cmp_lt_i32 s33, s55                                      // 000000005980: BF043721
	s_cbranch_scc0 label_0C56                                  // 000000005984: BF840074
	s_mov_b32 s58, 0                                           // 000000005988: BEBA0080
	s_mov_b32 s59, -1                                          // 00000000598C: BEBB00C1
	s_mov_b64 exec, s[58:59]                                   // 000000005990: BEFE013A
	global_atomic_pk_add_bf16 v4, v56, s[16:17]                // 000000005994: DD488000 00103804
	s_addk_i32 s33, 0x1                                        // 00000000599C: B7210001
	s_mov_b32 s58, -1                                          // 0000000059A0: BEBA00C1
	s_mov_b32 s59, -1                                          // 0000000059A4: BEBB00C1
	s_mov_b64 exec, s[58:59]                                   // 0000000059A8: BEFE013A
	v_add_u32_e64 v4, v4, s31                                  // 0000000059AC: D1340004 00003F04
	s_cmp_lt_i32 s33, s55                                      // 0000000059B4: BF043721
	s_cbranch_scc0 label_0C56                                  // 0000000059B8: BF840067
	s_mov_b32 s58, -1                                          // 0000000059BC: BEBA00C1
	s_mov_b32 s59, 0                                           // 0000000059C0: BEBB0080
	s_mov_b64 exec, s[58:59]                                   // 0000000059C4: BEFE013A
	global_atomic_pk_add_bf16 v4, v57, s[16:17]                // 0000000059C8: DD488000 00103904
	s_addk_i32 s33, 0x1                                        // 0000000059D0: B7210001
	s_cmp_lt_i32 s33, s55                                      // 0000000059D4: BF043721
	s_cbranch_scc0 label_0C56                                  // 0000000059D8: BF84005F
	s_mov_b32 s58, 0                                           // 0000000059DC: BEBA0080
	s_mov_b32 s59, -1                                          // 0000000059E0: BEBB00C1
	s_mov_b64 exec, s[58:59]                                   // 0000000059E4: BEFE013A
	global_atomic_pk_add_bf16 v4, v57, s[16:17]                // 0000000059E8: DD488000 00103904
	s_addk_i32 s33, 0x1                                        // 0000000059F0: B7210001
	s_mov_b32 s58, -1                                          // 0000000059F4: BEBA00C1
	s_mov_b32 s59, -1                                          // 0000000059F8: BEBB00C1
	s_mov_b64 exec, s[58:59]                                   // 0000000059FC: BEFE013A
	v_add_u32_e64 v4, v4, s31                                  // 000000005A00: D1340004 00003F04
	s_cmp_lt_i32 s33, s55                                      // 000000005A08: BF043721
	s_cbranch_scc0 label_0C56                                  // 000000005A0C: BF840052
	s_mov_b32 s58, -1                                          // 000000005A10: BEBA00C1
	s_mov_b32 s59, 0                                           // 000000005A14: BEBB0080
	s_mov_b64 exec, s[58:59]                                   // 000000005A18: BEFE013A
	global_atomic_pk_add_bf16 v4, v58, s[16:17]                // 000000005A1C: DD488000 00103A04
	s_addk_i32 s33, 0x1                                        // 000000005A24: B7210001
	s_cmp_lt_i32 s33, s55                                      // 000000005A28: BF043721
	s_cbranch_scc0 label_0C56                                  // 000000005A2C: BF84004A
	s_mov_b32 s58, 0                                           // 000000005A30: BEBA0080
	s_mov_b32 s59, -1                                          // 000000005A34: BEBB00C1
	s_mov_b64 exec, s[58:59]                                   // 000000005A38: BEFE013A
	global_atomic_pk_add_bf16 v4, v58, s[16:17]                // 000000005A3C: DD488000 00103A04
	s_addk_i32 s33, 0x1                                        // 000000005A44: B7210001
	s_mov_b32 s58, -1                                          // 000000005A48: BEBA00C1
	s_mov_b32 s59, -1                                          // 000000005A4C: BEBB00C1
	s_mov_b64 exec, s[58:59]                                   // 000000005A50: BEFE013A
	v_add_u32_e64 v4, v4, s31                                  // 000000005A54: D1340004 00003F04
	s_cmp_lt_i32 s33, s55                                      // 000000005A5C: BF043721
	s_cbranch_scc0 label_0C56                                  // 000000005A60: BF84003D
	s_mov_b32 s58, -1                                          // 000000005A64: BEBA00C1
	s_mov_b32 s59, 0                                           // 000000005A68: BEBB0080
	s_mov_b64 exec, s[58:59]                                   // 000000005A6C: BEFE013A
	global_atomic_pk_add_bf16 v4, v59, s[16:17]                // 000000005A70: DD488000 00103B04
	s_addk_i32 s33, 0x1                                        // 000000005A78: B7210001
	s_cmp_lt_i32 s33, s55                                      // 000000005A7C: BF043721
	s_cbranch_scc0 label_0C56                                  // 000000005A80: BF840035
	s_mov_b32 s58, 0                                           // 000000005A84: BEBA0080
	s_mov_b32 s59, -1                                          // 000000005A88: BEBB00C1
	s_mov_b64 exec, s[58:59]                                   // 000000005A8C: BEFE013A
	global_atomic_pk_add_bf16 v4, v59, s[16:17]                // 000000005A90: DD488000 00103B04
	s_addk_i32 s33, 0x1                                        // 000000005A98: B7210001
	s_mov_b32 s58, -1                                          // 000000005A9C: BEBA00C1
	s_mov_b32 s59, -1                                          // 000000005AA0: BEBB00C1
	s_mov_b64 exec, s[58:59]                                   // 000000005AA4: BEFE013A
	v_add_u32_e64 v4, v4, s31                                  // 000000005AA8: D1340004 00003F04
	s_cmp_lt_i32 s33, s55                                      // 000000005AB0: BF043721
	s_cbranch_scc0 label_0C56                                  // 000000005AB4: BF840028
	s_mov_b32 s58, -1                                          // 000000005AB8: BEBA00C1
	s_mov_b32 s59, 0                                           // 000000005ABC: BEBB0080
	s_mov_b64 exec, s[58:59]                                   // 000000005AC0: BEFE013A
	global_atomic_pk_add_bf16 v4, v60, s[16:17]                // 000000005AC4: DD488000 00103C04
	s_addk_i32 s33, 0x1                                        // 000000005ACC: B7210001
	s_cmp_lt_i32 s33, s55                                      // 000000005AD0: BF043721
	s_cbranch_scc0 label_0C56                                  // 000000005AD4: BF840020
	s_mov_b32 s58, 0                                           // 000000005AD8: BEBA0080
	s_mov_b32 s59, -1                                          // 000000005ADC: BEBB00C1
	s_mov_b64 exec, s[58:59]                                   // 000000005AE0: BEFE013A
	global_atomic_pk_add_bf16 v4, v60, s[16:17]                // 000000005AE4: DD488000 00103C04
	s_addk_i32 s33, 0x1                                        // 000000005AEC: B7210001
	s_mov_b32 s58, -1                                          // 000000005AF0: BEBA00C1
	s_mov_b32 s59, -1                                          // 000000005AF4: BEBB00C1
	s_mov_b64 exec, s[58:59]                                   // 000000005AF8: BEFE013A
	v_add_u32_e64 v4, v4, s31                                  // 000000005AFC: D1340004 00003F04
	s_cmp_lt_i32 s33, s55                                      // 000000005B04: BF043721
	s_cbranch_scc0 label_0C56                                  // 000000005B08: BF840013
	s_mov_b32 s58, -1                                          // 000000005B0C: BEBA00C1
	s_mov_b32 s59, 0                                           // 000000005B10: BEBB0080
	s_mov_b64 exec, s[58:59]                                   // 000000005B14: BEFE013A
	global_atomic_pk_add_bf16 v4, v61, s[16:17]                // 000000005B18: DD488000 00103D04
	s_addk_i32 s33, 0x1                                        // 000000005B20: B7210001
	s_cmp_lt_i32 s33, s55                                      // 000000005B24: BF043721
	s_cbranch_scc0 label_0C56                                  // 000000005B28: BF84000B
	s_mov_b32 s58, 0                                           // 000000005B2C: BEBA0080
	s_mov_b32 s59, -1                                          // 000000005B30: BEBB00C1
	s_mov_b64 exec, s[58:59]                                   // 000000005B34: BEFE013A
	global_atomic_pk_add_bf16 v4, v61, s[16:17]                // 000000005B38: DD488000 00103D04
	s_addk_i32 s33, 0x1                                        // 000000005B40: B7210001
	s_mov_b32 s58, -1                                          // 000000005B44: BEBA00C1
	s_mov_b32 s59, -1                                          // 000000005B48: BEBB00C1
	s_mov_b64 exec, s[58:59]                                   // 000000005B4C: BEFE013A
	v_add_u32_e64 v4, v4, s31                                  // 000000005B50: D1340004 00003F04

0000000000005b58 <label_0C56>:
	s_barrier                                                  // 000000005B58: BF8A0000
	s_cmp_eq_u32 s24, 0                                        // 000000005B5C: BF068018
	s_cbranch_scc0 label_0CFF                                  // 000000005B60: BF8400A6
	s_atomic_dec s52, s[40:41], s62                            // 000000005B64: C2300D14 0000003E
	s_branch label_0CFF                                        // 000000005B6C: BF8200A3

0000000000005b70 <label_0C5C>:
	s_cmp_lt_u32 s54, 1                                        // 000000005B70: BF0A8136
	s_cbranch_scc0 label_0C69                                  // 000000005B74: BF84000B
	buffer_store_dwordx4 v[32:35], v12, s[16:19], 0 offen      // 000000005B78: E07C1000 8004200C
	buffer_store_dwordx4 v[36:39], v13, s[16:19], 0 offen      // 000000005B80: E07C1000 8004240D
	buffer_store_dwordx4 v[40:43], v14, s[16:19], 0 offen      // 000000005B88: E07C1000 8004280E
	buffer_store_dwordx4 v[44:47], v15, s[16:19], 0 offen      // 000000005B90: E07C1000 80042C0F
	buffer_store_dwordx4 v[48:51], v16, s[16:19], 0 offen      // 000000005B98: E07C1000 80043010
	s_branch label_0CFF                                        // 000000005BA0: BF820096

0000000000005ba4 <label_0C69>:
	v_cmp_u_f32_e64 s[60:61], v32, v32                         // 000000005BA4: D048003C 00024120
	v_add3_u32 v8, v32, v11, 1                                 // 000000005BAC: D1FF0008 02061720
	v_cndmask_b32_e64 v4, v8, v10, s[60:61]                    // 000000005BB4: D1000004 00F21508
	v_cmp_u_f32_e64 s[60:61], v33, v33                         // 000000005BBC: D048003C 00024321
	v_add3_u32 v8, v33, v11, 1                                 // 000000005BC4: D1FF0008 02061721
	v_cndmask_b32_e64 v5, v8, v10, s[60:61]                    // 000000005BCC: D1000005 00F21508
	v_perm_b32 v52, v5, v4, s35                                // 000000005BD4: D1ED0034 008E0905
	v_cmp_u_f32_e64 s[60:61], v34, v34                         // 000000005BDC: D048003C 00024522
	v_add3_u32 v8, v34, v11, 1                                 // 000000005BE4: D1FF0008 02061722
	v_cndmask_b32_e64 v4, v8, v10, s[60:61]                    // 000000005BEC: D1000004 00F21508
	v_cmp_u_f32_e64 s[60:61], v35, v35                         // 000000005BF4: D048003C 00024723
	v_add3_u32 v8, v35, v11, 1                                 // 000000005BFC: D1FF0008 02061723
	v_cndmask_b32_e64 v5, v8, v10, s[60:61]                    // 000000005C04: D1000005 00F21508
	v_perm_b32 v53, v5, v4, s35                                // 000000005C0C: D1ED0035 008E0905
	buffer_store_dwordx2 v[52:53], v12, s[16:19], 0 offen      // 000000005C14: E0741000 8004340C
	v_cmp_u_f32_e64 s[60:61], v36, v36                         // 000000005C1C: D048003C 00024924
	v_add3_u32 v8, v36, v11, 1                                 // 000000005C24: D1FF0008 02061724
	v_cndmask_b32_e64 v4, v8, v10, s[60:61]                    // 000000005C2C: D1000004 00F21508
	v_cmp_u_f32_e64 s[60:61], v37, v37                         // 000000005C34: D048003C 00024B25
	v_add3_u32 v8, v37, v11, 1                                 // 000000005C3C: D1FF0008 02061725
	v_cndmask_b32_e64 v5, v8, v10, s[60:61]                    // 000000005C44: D1000005 00F21508
	v_perm_b32 v54, v5, v4, s35                                // 000000005C4C: D1ED0036 008E0905
	v_cmp_u_f32_e64 s[60:61], v38, v38                         // 000000005C54: D048003C 00024D26
	v_add3_u32 v8, v38, v11, 1                                 // 000000005C5C: D1FF0008 02061726
	v_cndmask_b32_e64 v4, v8, v10, s[60:61]                    // 000000005C64: D1000004 00F21508
	v_cmp_u_f32_e64 s[60:61], v39, v39                         // 000000005C6C: D048003C 00024F27
	v_add3_u32 v8, v39, v11, 1                                 // 000000005C74: D1FF0008 02061727
	v_cndmask_b32_e64 v5, v8, v10, s[60:61]                    // 000000005C7C: D1000005 00F21508
	v_perm_b32 v55, v5, v4, s35                                // 000000005C84: D1ED0037 008E0905
	buffer_store_dwordx2 v[54:55], v13, s[16:19], 0 offen      // 000000005C8C: E0741000 8004360D
	v_cmp_u_f32_e64 s[60:61], v40, v40                         // 000000005C94: D048003C 00025128
	v_add3_u32 v8, v40, v11, 1                                 // 000000005C9C: D1FF0008 02061728
	v_cndmask_b32_e64 v4, v8, v10, s[60:61]                    // 000000005CA4: D1000004 00F21508
	v_cmp_u_f32_e64 s[60:61], v41, v41                         // 000000005CAC: D048003C 00025329
	v_add3_u32 v8, v41, v11, 1                                 // 000000005CB4: D1FF0008 02061729
	v_cndmask_b32_e64 v5, v8, v10, s[60:61]                    // 000000005CBC: D1000005 00F21508
	v_perm_b32 v56, v5, v4, s35                                // 000000005CC4: D1ED0038 008E0905
	v_cmp_u_f32_e64 s[60:61], v42, v42                         // 000000005CCC: D048003C 0002552A
	v_add3_u32 v8, v42, v11, 1                                 // 000000005CD4: D1FF0008 0206172A
	v_cndmask_b32_e64 v4, v8, v10, s[60:61]                    // 000000005CDC: D1000004 00F21508
	v_cmp_u_f32_e64 s[60:61], v43, v43                         // 000000005CE4: D048003C 0002572B
	v_add3_u32 v8, v43, v11, 1                                 // 000000005CEC: D1FF0008 0206172B
	v_cndmask_b32_e64 v5, v8, v10, s[60:61]                    // 000000005CF4: D1000005 00F21508
	v_perm_b32 v57, v5, v4, s35                                // 000000005CFC: D1ED0039 008E0905
	buffer_store_dwordx2 v[56:57], v14, s[16:19], 0 offen      // 000000005D04: E0741000 8004380E
	v_cmp_u_f32_e64 s[60:61], v44, v44                         // 000000005D0C: D048003C 0002592C
	v_add3_u32 v8, v44, v11, 1                                 // 000000005D14: D1FF0008 0206172C
	v_cndmask_b32_e64 v4, v8, v10, s[60:61]                    // 000000005D1C: D1000004 00F21508
	v_cmp_u_f32_e64 s[60:61], v45, v45                         // 000000005D24: D048003C 00025B2D
	v_add3_u32 v8, v45, v11, 1                                 // 000000005D2C: D1FF0008 0206172D
	v_cndmask_b32_e64 v5, v8, v10, s[60:61]                    // 000000005D34: D1000005 00F21508
	v_perm_b32 v58, v5, v4, s35                                // 000000005D3C: D1ED003A 008E0905
	v_cmp_u_f32_e64 s[60:61], v46, v46                         // 000000005D44: D048003C 00025D2E
	v_add3_u32 v8, v46, v11, 1                                 // 000000005D4C: D1FF0008 0206172E
	v_cndmask_b32_e64 v4, v8, v10, s[60:61]                    // 000000005D54: D1000004 00F21508
	v_cmp_u_f32_e64 s[60:61], v47, v47                         // 000000005D5C: D048003C 00025F2F
	v_add3_u32 v8, v47, v11, 1                                 // 000000005D64: D1FF0008 0206172F
	v_cndmask_b32_e64 v5, v8, v10, s[60:61]                    // 000000005D6C: D1000005 00F21508
	v_perm_b32 v59, v5, v4, s35                                // 000000005D74: D1ED003B 008E0905
	buffer_store_dwordx2 v[58:59], v15, s[16:19], 0 offen      // 000000005D7C: E0741000 80043A0F
	v_cmp_u_f32_e64 s[60:61], v48, v48                         // 000000005D84: D048003C 00026130
	v_add3_u32 v8, v48, v11, 1                                 // 000000005D8C: D1FF0008 02061730
	v_cndmask_b32_e64 v4, v8, v10, s[60:61]                    // 000000005D94: D1000004 00F21508
	v_cmp_u_f32_e64 s[60:61], v49, v49                         // 000000005D9C: D048003C 00026331
	v_add3_u32 v8, v49, v11, 1                                 // 000000005DA4: D1FF0008 02061731
	v_cndmask_b32_e64 v5, v8, v10, s[60:61]                    // 000000005DAC: D1000005 00F21508
	v_perm_b32 v60, v5, v4, s35                                // 000000005DB4: D1ED003C 008E0905
	v_cmp_u_f32_e64 s[60:61], v50, v50                         // 000000005DBC: D048003C 00026532
	v_add3_u32 v8, v50, v11, 1                                 // 000000005DC4: D1FF0008 02061732
	v_cndmask_b32_e64 v4, v8, v10, s[60:61]                    // 000000005DCC: D1000004 00F21508
	v_cmp_u_f32_e64 s[60:61], v51, v51                         // 000000005DD4: D048003C 00026733
	v_add3_u32 v8, v51, v11, 1                                 // 000000005DDC: D1FF0008 02061733
	v_cndmask_b32_e64 v5, v8, v10, s[60:61]                    // 000000005DE4: D1000005 00F21508
	v_perm_b32 v61, v5, v4, s35                                // 000000005DEC: D1ED003D 008E0905
	buffer_store_dwordx2 v[60:61], v16, s[16:19], 0 offen      // 000000005DF4: E0741000 80043C10

0000000000005dfc <label_0CFF>:
	s_waitcnt vmcnt(0) expcnt(0) lgkmcnt(0)                    // 000000005DFC: BF8C0000
	s_endpgm                                                   // 000000005E00: BF810000
